;; amdgpu-corpus repo=ROCm/rocSPARSE kind=compiled arch=gfx1100 opt=O3
	.text
	.amdgcn_target "amdgcn-amd-amdhsa--gfx1100"
	.amdhsa_code_object_version 6
	.section	.text._ZN9rocsparseL19gpsv_strided_gatherILj256EfEEviiiPKT0_PS1_,"axG",@progbits,_ZN9rocsparseL19gpsv_strided_gatherILj256EfEEviiiPKT0_PS1_,comdat
	.globl	_ZN9rocsparseL19gpsv_strided_gatherILj256EfEEviiiPKT0_PS1_ ; -- Begin function _ZN9rocsparseL19gpsv_strided_gatherILj256EfEEviiiPKT0_PS1_
	.p2align	8
	.type	_ZN9rocsparseL19gpsv_strided_gatherILj256EfEEviiiPKT0_PS1_,@function
_ZN9rocsparseL19gpsv_strided_gatherILj256EfEEviiiPKT0_PS1_: ; @_ZN9rocsparseL19gpsv_strided_gatherILj256EfEEviiiPKT0_PS1_
; %bb.0:
	s_clause 0x1
	s_load_b32 s2, s[0:1], 0x2c
	s_load_b128 s[4:7], s[0:1], 0x0
	s_waitcnt lgkmcnt(0)
	s_and_b32 s2, s2, 0xffff
	s_cmp_gt_i32 s4, 0
	v_mad_u64_u32 v[1:2], null, s15, s2, v[0:1]
	s_cselect_b32 s2, -1, 0
	s_delay_alu instid0(VALU_DEP_1) | instskip(SKIP_1) | instid1(SALU_CYCLE_1)
	v_cmp_gt_i32_e32 vcc_lo, s5, v1
	s_and_b32 s2, vcc_lo, s2
	s_and_saveexec_b32 s3, s2
	s_cbranch_execz .LBB0_3
; %bb.1:
	s_load_b128 s[0:3], s[0:1], 0x10
	v_mov_b32_e32 v3, v1
	.p2align	6
.LBB0_2:                                ; =>This Inner Loop Header: Depth=1
	v_ashrrev_i32_e32 v2, 31, v1
	s_add_i32 s4, s4, -1
	s_delay_alu instid0(SALU_CYCLE_1) | instskip(NEXT) | instid1(VALU_DEP_1)
	s_cmp_lg_u32 s4, 0
	v_lshlrev_b64 v[4:5], 2, v[1:2]
	v_add_nc_u32_e32 v1, s6, v1
	s_waitcnt lgkmcnt(0)
	s_delay_alu instid0(VALU_DEP_2) | instskip(NEXT) | instid1(VALU_DEP_3)
	v_add_co_u32 v4, vcc_lo, s0, v4
	v_add_co_ci_u32_e32 v5, vcc_lo, s1, v5, vcc_lo
	global_load_b32 v0, v[4:5], off
	v_ashrrev_i32_e32 v4, 31, v3
	s_delay_alu instid0(VALU_DEP_1) | instskip(SKIP_1) | instid1(VALU_DEP_2)
	v_lshlrev_b64 v[4:5], 2, v[3:4]
	v_add_nc_u32_e32 v3, s5, v3
	v_add_co_u32 v4, vcc_lo, s2, v4
	s_delay_alu instid0(VALU_DEP_3)
	v_add_co_ci_u32_e32 v5, vcc_lo, s3, v5, vcc_lo
	s_waitcnt vmcnt(0)
	global_store_b32 v[4:5], v0, off
	s_cbranch_scc1 .LBB0_2
.LBB0_3:
	s_nop 0
	s_sendmsg sendmsg(MSG_DEALLOC_VGPRS)
	s_endpgm
	.section	.rodata,"a",@progbits
	.p2align	6, 0x0
	.amdhsa_kernel _ZN9rocsparseL19gpsv_strided_gatherILj256EfEEviiiPKT0_PS1_
		.amdhsa_group_segment_fixed_size 0
		.amdhsa_private_segment_fixed_size 0
		.amdhsa_kernarg_size 288
		.amdhsa_user_sgpr_count 15
		.amdhsa_user_sgpr_dispatch_ptr 0
		.amdhsa_user_sgpr_queue_ptr 0
		.amdhsa_user_sgpr_kernarg_segment_ptr 1
		.amdhsa_user_sgpr_dispatch_id 0
		.amdhsa_user_sgpr_private_segment_size 0
		.amdhsa_wavefront_size32 1
		.amdhsa_uses_dynamic_stack 0
		.amdhsa_enable_private_segment 0
		.amdhsa_system_sgpr_workgroup_id_x 1
		.amdhsa_system_sgpr_workgroup_id_y 0
		.amdhsa_system_sgpr_workgroup_id_z 0
		.amdhsa_system_sgpr_workgroup_info 0
		.amdhsa_system_vgpr_workitem_id 0
		.amdhsa_next_free_vgpr 6
		.amdhsa_next_free_sgpr 16
		.amdhsa_reserve_vcc 1
		.amdhsa_float_round_mode_32 0
		.amdhsa_float_round_mode_16_64 0
		.amdhsa_float_denorm_mode_32 3
		.amdhsa_float_denorm_mode_16_64 3
		.amdhsa_dx10_clamp 1
		.amdhsa_ieee_mode 1
		.amdhsa_fp16_overflow 0
		.amdhsa_workgroup_processor_mode 1
		.amdhsa_memory_ordered 1
		.amdhsa_forward_progress 0
		.amdhsa_shared_vgpr_count 0
		.amdhsa_exception_fp_ieee_invalid_op 0
		.amdhsa_exception_fp_denorm_src 0
		.amdhsa_exception_fp_ieee_div_zero 0
		.amdhsa_exception_fp_ieee_overflow 0
		.amdhsa_exception_fp_ieee_underflow 0
		.amdhsa_exception_fp_ieee_inexact 0
		.amdhsa_exception_int_div_zero 0
	.end_amdhsa_kernel
	.section	.text._ZN9rocsparseL19gpsv_strided_gatherILj256EfEEviiiPKT0_PS1_,"axG",@progbits,_ZN9rocsparseL19gpsv_strided_gatherILj256EfEEviiiPKT0_PS1_,comdat
.Lfunc_end0:
	.size	_ZN9rocsparseL19gpsv_strided_gatherILj256EfEEviiiPKT0_PS1_, .Lfunc_end0-_ZN9rocsparseL19gpsv_strided_gatherILj256EfEEviiiPKT0_PS1_
                                        ; -- End function
	.section	.AMDGPU.csdata,"",@progbits
; Kernel info:
; codeLenInByte = 200
; NumSgprs: 18
; NumVgprs: 6
; ScratchSize: 0
; MemoryBound: 0
; FloatMode: 240
; IeeeMode: 1
; LDSByteSize: 0 bytes/workgroup (compile time only)
; SGPRBlocks: 2
; VGPRBlocks: 0
; NumSGPRsForWavesPerEU: 18
; NumVGPRsForWavesPerEU: 6
; Occupancy: 16
; WaveLimiterHint : 0
; COMPUTE_PGM_RSRC2:SCRATCH_EN: 0
; COMPUTE_PGM_RSRC2:USER_SGPR: 15
; COMPUTE_PGM_RSRC2:TRAP_HANDLER: 0
; COMPUTE_PGM_RSRC2:TGID_X_EN: 1
; COMPUTE_PGM_RSRC2:TGID_Y_EN: 0
; COMPUTE_PGM_RSRC2:TGID_Z_EN: 0
; COMPUTE_PGM_RSRC2:TIDIG_COMP_CNT: 0
	.section	.text._ZN9rocsparseL44gpsv_interleaved_batch_householder_qr_kernelILj256EfEEviiiPT0_S2_S2_S2_S2_S2_S2_S2_S2_,"axG",@progbits,_ZN9rocsparseL44gpsv_interleaved_batch_householder_qr_kernelILj256EfEEviiiPT0_S2_S2_S2_S2_S2_S2_S2_S2_,comdat
	.globl	_ZN9rocsparseL44gpsv_interleaved_batch_householder_qr_kernelILj256EfEEviiiPT0_S2_S2_S2_S2_S2_S2_S2_S2_ ; -- Begin function _ZN9rocsparseL44gpsv_interleaved_batch_householder_qr_kernelILj256EfEEviiiPT0_S2_S2_S2_S2_S2_S2_S2_S2_
	.p2align	8
	.type	_ZN9rocsparseL44gpsv_interleaved_batch_householder_qr_kernelILj256EfEEviiiPT0_S2_S2_S2_S2_S2_S2_S2_S2_,@function
_ZN9rocsparseL44gpsv_interleaved_batch_householder_qr_kernelILj256EfEEviiiPT0_S2_S2_S2_S2_S2_S2_S2_S2_: ; @_ZN9rocsparseL44gpsv_interleaved_batch_householder_qr_kernelILj256EfEEviiiPT0_S2_S2_S2_S2_S2_S2_S2_S2_
; %bb.0:
	s_clause 0x1
	s_load_b32 s2, s[0:1], 0x64
	s_load_b128 s[4:7], s[0:1], 0x0
	s_waitcnt lgkmcnt(0)
	s_and_b32 s2, s2, 0xffff
	s_delay_alu instid0(SALU_CYCLE_1) | instskip(SKIP_2) | instid1(VALU_DEP_1)
	s_mul_i32 s7, s15, s2
	s_mov_b32 s2, exec_lo
	v_add_nc_u32_e32 v1, s7, v0
	v_cmpx_gt_i32_e64 s5, v1
	s_cbranch_execz .LBB1_22
; %bb.1:
	s_clause 0x3
	s_load_b64 s[20:21], s[0:1], 0x50
	s_load_b128 s[8:11], s[0:1], 0x40
	s_load_b128 s[12:15], s[0:1], 0x20
	s_load_b64 s[22:23], s[0:1], 0x30
	s_add_i32 s24, s4, -1
	s_cmp_lt_i32 s4, 2
	s_cbranch_scc1 .LBB1_9
; %bb.2:
	s_load_b128 s[16:19], s[0:1], 0x10
	v_dual_mov_b32 v22, v0 :: v_dual_add_nc_u32 v17, s5, v0
	v_lshl_add_u32 v18, s5, 1, v0
	v_add_nc_u32_e32 v19, s6, v0
	v_lshl_add_u32 v20, s6, 1, v0
	v_mov_b32_e32 v21, v0
	s_mov_b32 s25, s24
	s_branch .LBB1_4
.LBB1_3:                                ;   in Loop: Header=BB1_4 Depth=1
	s_or_b32 exec_lo, exec_lo, s27
	v_add_nc_u32_e32 v17, s5, v17
	v_add_nc_u32_e32 v18, s5, v18
	;; [unrolled: 1-line block ×6, first 2 shown]
	s_add_i32 s25, s25, -1
	s_delay_alu instid0(SALU_CYCLE_1)
	s_cmp_eq_u32 s25, 0
	s_cbranch_scc1 .LBB1_9
.LBB1_4:                                ; =>This Inner Loop Header: Depth=1
	s_waitcnt vmcnt(0)
	v_dual_mov_b32 v24, 0 :: v_dual_add_nc_u32 v1, s7, v19
	v_dual_mov_b32 v28, 0 :: v_dual_add_nc_u32 v5, s7, v17
	v_add_nc_u32_e32 v11, s7, v20
	s_delay_alu instid0(VALU_DEP_3) | instskip(SKIP_1) | instid1(VALU_DEP_4)
	v_ashrrev_i32_e32 v2, 31, v1
	v_dual_mov_b32 v31, 0 :: v_dual_mov_b32 v12, 0
	v_ashrrev_i32_e32 v6, 31, v5
	s_cmp_lg_u32 s25, 1
	s_delay_alu instid0(VALU_DEP_3)
	v_lshlrev_b64 v[1:2], 2, v[1:2]
	s_cselect_b32 s26, -1, 0
	s_cmp_eq_u32 s25, 1
	v_lshlrev_b64 v[15:16], 2, v[5:6]
	v_mov_b32_e32 v30, 0
	s_waitcnt lgkmcnt(0)
	v_add_co_u32 v13, vcc_lo, s18, v1
	v_add_co_ci_u32_e32 v14, vcc_lo, s19, v2, vcc_lo
	v_add_co_u32 v3, vcc_lo, s12, v1
	v_add_co_ci_u32_e32 v4, vcc_lo, s13, v2, vcc_lo
	;; [unrolled: 2-line block ×5, first 2 shown]
	global_load_b32 v29, v[13:14], off
	global_load_b32 v26, v[3:4], off
	;; [unrolled: 1-line block ×5, first 2 shown]
	v_dual_mov_b32 v2, 0 :: v_dual_add_nc_u32 v1, s7, v18
	s_cbranch_scc1 .LBB1_6
; %bb.5:                                ;   in Loop: Header=BB1_4 Depth=1
	v_ashrrev_i32_e32 v12, 31, v11
	s_delay_alu instid0(VALU_DEP_2) | instskip(NEXT) | instid1(VALU_DEP_2)
	v_ashrrev_i32_e32 v2, 31, v1
	v_lshlrev_b64 v[30:31], 2, v[11:12]
	s_delay_alu instid0(VALU_DEP_2) | instskip(NEXT) | instid1(VALU_DEP_2)
	v_lshlrev_b64 v[38:39], 2, v[1:2]
	v_add_co_u32 v32, vcc_lo, s16, v30
	s_delay_alu instid0(VALU_DEP_3)
	v_add_co_ci_u32_e32 v33, vcc_lo, s17, v31, vcc_lo
	v_add_co_u32 v34, vcc_lo, s18, v30
	v_add_co_ci_u32_e32 v35, vcc_lo, s19, v31, vcc_lo
	v_add_co_u32 v36, vcc_lo, s12, v30
	v_add_co_ci_u32_e32 v37, vcc_lo, s13, v31, vcc_lo
	global_load_b32 v12, v[32:33], off
	v_add_co_u32 v32, vcc_lo, s14, v30
	v_add_co_ci_u32_e32 v33, vcc_lo, s15, v31, vcc_lo
	v_add_co_u32 v40, vcc_lo, s22, v30
	v_add_co_ci_u32_e32 v41, vcc_lo, s23, v31, vcc_lo
	;; [unrolled: 2-line block ×3, first 2 shown]
	global_load_b32 v31, v[34:35], off
	global_load_b32 v30, v[36:37], off
	;; [unrolled: 1-line block ×5, first 2 shown]
.LBB1_6:                                ;   in Loop: Header=BB1_4 Depth=1
	s_waitcnt vmcnt(5)
	v_mul_f32_e32 v32, v12, v12
	s_mov_b32 s27, exec_lo
	s_waitcnt vmcnt(4)
	s_delay_alu instid0(VALU_DEP_1) | instskip(NEXT) | instid1(VALU_DEP_1)
	v_fmac_f32_e32 v32, v29, v29
	v_cmpx_neq_f32_e32 0, v32
	s_cbranch_execz .LBB1_3
; %bb.7:                                ;   in Loop: Header=BB1_4 Depth=1
	v_add_nc_u32_e32 v33, s7, v21
	s_delay_alu instid0(VALU_DEP_1) | instskip(NEXT) | instid1(VALU_DEP_1)
	v_ashrrev_i32_e32 v34, 31, v33
	v_lshlrev_b64 v[33:34], 2, v[33:34]
	s_delay_alu instid0(VALU_DEP_1) | instskip(NEXT) | instid1(VALU_DEP_2)
	v_add_co_u32 v35, vcc_lo, s12, v33
	v_add_co_ci_u32_e32 v36, vcc_lo, s13, v34, vcc_lo
	global_load_b32 v47, v[35:36], off
	s_waitcnt vmcnt(0)
	v_fma_f32 v41, v47, v47, v32
	s_delay_alu instid0(VALU_DEP_1) | instskip(NEXT) | instid1(VALU_DEP_1)
	v_dual_mul_f32 v42, 0x4f800000, v41 :: v_dual_add_nc_u32 v37, s7, v22
	v_ashrrev_i32_e32 v38, 31, v37
	s_delay_alu instid0(VALU_DEP_1) | instskip(NEXT) | instid1(VALU_DEP_1)
	v_lshlrev_b64 v[37:38], 2, v[37:38]
	v_add_co_u32 v39, vcc_lo, s8, v37
	s_delay_alu instid0(VALU_DEP_2) | instskip(SKIP_3) | instid1(VALU_DEP_1)
	v_add_co_ci_u32_e32 v40, vcc_lo, s9, v38, vcc_lo
	v_cmp_gt_f32_e32 vcc_lo, 0xf800000, v41
	global_load_b32 v48, v[39:40], off
	v_cndmask_b32_e32 v41, v41, v42, vcc_lo
	v_sqrt_f32_e32 v42, v41
	s_waitcnt_depctr 0xfff
	v_add_nc_u32_e32 v43, -1, v42
	v_add_nc_u32_e32 v44, 1, v42
	s_delay_alu instid0(VALU_DEP_2) | instskip(NEXT) | instid1(VALU_DEP_2)
	v_fma_f32 v45, -v43, v42, v41
	v_fma_f32 v46, -v44, v42, v41
	s_delay_alu instid0(VALU_DEP_2) | instskip(NEXT) | instid1(VALU_DEP_1)
	v_cmp_ge_f32_e64 s2, 0, v45
	v_cndmask_b32_e64 v42, v42, v43, s2
	s_delay_alu instid0(VALU_DEP_3) | instskip(NEXT) | instid1(VALU_DEP_1)
	v_cmp_lt_f32_e64 s2, 0, v46
	v_cndmask_b32_e64 v42, v42, v44, s2
	s_delay_alu instid0(VALU_DEP_1) | instskip(NEXT) | instid1(VALU_DEP_1)
	v_mul_f32_e32 v43, 0x37800000, v42
	v_cndmask_b32_e32 v42, v42, v43, vcc_lo
	v_cmp_class_f32_e64 vcc_lo, v41, 0x260
	s_delay_alu instid0(VALU_DEP_2) | instskip(SKIP_1) | instid1(VALU_DEP_2)
	v_cndmask_b32_e32 v41, v42, v41, vcc_lo
	v_cmp_lt_f32_e32 vcc_lo, 0, v47
	v_cndmask_b32_e64 v43, -v41, v41, vcc_lo
	v_add_co_u32 v41, vcc_lo, s8, v15
	v_add_co_ci_u32_e32 v42, vcc_lo, s9, v16, vcc_lo
	s_delay_alu instid0(VALU_DEP_3) | instskip(SKIP_2) | instid1(VALU_DEP_3)
	v_add_f32_e32 v15, v47, v43
	v_add_co_u32 v43, vcc_lo, s14, v33
	v_add_co_ci_u32_e32 v44, vcc_lo, s15, v34, vcc_lo
	v_div_scale_f32 v16, null, v15, v15, v29
	v_div_scale_f32 v49, null, v15, v15, v12
	v_add_co_u32 v33, vcc_lo, s22, v33
	s_delay_alu instid0(VALU_DEP_3) | instskip(NEXT) | instid1(VALU_DEP_2)
	v_rcp_f32_e32 v50, v16
	v_rcp_f32_e32 v51, v49
	v_add_co_ci_u32_e32 v34, vcc_lo, s23, v34, vcc_lo
	s_waitcnt_depctr 0xfff
	v_fma_f32 v55, -v16, v50, 1.0
	v_fma_f32 v56, -v49, v51, 1.0
	s_delay_alu instid0(VALU_DEP_1)
	v_dual_fmac_f32 v50, v55, v50 :: v_dual_fmac_f32 v51, v56, v51
	v_mul_f32_e32 v45, v15, v15
	global_load_b32 v55, v[43:44], off
	global_load_b32 v63, v[33:34], off
	;; [unrolled: 1-line block ×3, first 2 shown]
	v_add_f32_e32 v52, v45, v45
	v_add_co_u32 v45, vcc_lo, s10, v37
	v_add_co_ci_u32_e32 v46, vcc_lo, s11, v38, vcc_lo
	v_div_scale_f32 v54, vcc_lo, v29, v15, v29
	v_add_co_u32 v37, s3, s20, v37
	s_delay_alu instid0(VALU_DEP_1) | instskip(NEXT) | instid1(VALU_DEP_3)
	v_add_co_ci_u32_e64 v38, s3, s21, v38, s3
	v_mul_f32_e32 v56, v54, v50
	v_fmac_f32_e32 v32, v15, v15
	v_div_scale_f32 v58, s2, v12, v15, v12
	s_delay_alu instid0(VALU_DEP_3) | instskip(NEXT) | instid1(VALU_DEP_3)
	v_fma_f32 v62, -v16, v56, v54
	v_div_scale_f32 v53, null, v32, v32, v52
	s_delay_alu instid0(VALU_DEP_3) | instskip(SKIP_1) | instid1(VALU_DEP_4)
	v_mul_f32_e32 v60, v58, v51
	v_div_scale_f32 v61, s3, v52, v32, v52
	v_fmac_f32_e32 v56, v62, v50
	s_delay_alu instid0(VALU_DEP_4) | instskip(NEXT) | instid1(VALU_DEP_1)
	v_rcp_f32_e32 v57, v53
	v_fma_f32 v16, -v16, v56, v54
	s_delay_alu instid0(VALU_DEP_1) | instskip(SKIP_3) | instid1(VALU_DEP_1)
	v_div_fmas_f32 v16, v16, v50, v56
	s_waitcnt_depctr 0xfff
	v_fma_f32 v59, -v53, v57, 1.0
	s_mov_b32 vcc_lo, s2
	v_fmac_f32_e32 v57, v59, v57
	v_fma_f32 v59, -v49, v60, v58
	s_delay_alu instid0(VALU_DEP_1) | instskip(SKIP_3) | instid1(VALU_DEP_1)
	v_fmac_f32_e32 v60, v59, v51
	global_load_b32 v59, v[45:46], off
	global_load_b32 v65, v[37:38], off
	v_fma_f32 v49, -v49, v60, v58
	v_div_fmas_f32 v49, v49, v51, v60
	v_div_fixup_f32 v51, v16, v15, v29
	s_mov_b32 vcc_lo, s3
	s_delay_alu instid0(VALU_DEP_2) | instskip(SKIP_3) | instid1(VALU_DEP_1)
	v_div_fixup_f32 v15, v49, v15, v12
	global_store_b32 v[13:14], v51, off
	s_waitcnt vmcnt(5)
	v_fma_f32 v49, v51, v25, v48
	v_dual_mul_f32 v62, v61, v57 :: v_dual_fmac_f32 v49, v15, v2
	s_delay_alu instid0(VALU_DEP_1) | instskip(NEXT) | instid1(VALU_DEP_1)
	v_fma_f32 v54, -v53, v62, v61
	v_fmac_f32_e32 v62, v54, v57
	v_fma_f32 v54, v51, v29, v47
	s_delay_alu instid0(VALU_DEP_2) | instskip(NEXT) | instid1(VALU_DEP_2)
	v_fma_f32 v50, -v53, v62, v61
	v_fmac_f32_e32 v54, v15, v12
	s_delay_alu instid0(VALU_DEP_2) | instskip(NEXT) | instid1(VALU_DEP_1)
	v_div_fmas_f32 v16, v50, v57, v62
	v_div_fixup_f32 v50, v16, v32, v52
	s_delay_alu instid0(VALU_DEP_1)
	v_fma_f32 v16, -v49, v50, v48
	global_store_b32 v[39:40], v16, off
	global_load_b32 v39, v[41:42], off
	v_fma_f32 v40, v51, v51, 1.0
	s_waitcnt vmcnt(4)
	v_fma_f32 v57, v51, v27, v63
	v_fma_f32 v56, v51, v26, v55
	s_delay_alu instid0(VALU_DEP_2) | instskip(NEXT) | instid1(VALU_DEP_1)
	v_fmac_f32_e32 v57, v15, v30
	v_dual_fmac_f32 v56, v15, v31 :: v_dual_mul_f32 v29, v57, v50
	s_delay_alu instid0(VALU_DEP_1) | instskip(NEXT) | instid1(VALU_DEP_2)
	v_mul_f32_e32 v32, v56, v50
	v_fma_f32 v27, -v29, v51, v27
	s_delay_alu instid0(VALU_DEP_2) | instskip(SKIP_4) | instid1(VALU_DEP_2)
	v_fma_f32 v26, -v32, v51, v26
	s_waitcnt vmcnt(2)
	v_fma_f32 v58, v51, v64, v59
	s_waitcnt vmcnt(1)
	v_fma_f32 v61, v51, v23, v65
	v_fmac_f32_e32 v58, v15, v28
	v_fmac_f32_e32 v40, v15, v15
	s_delay_alu instid0(VALU_DEP_3) | instskip(NEXT) | instid1(VALU_DEP_3)
	v_fmac_f32_e32 v61, v15, v24
	v_mul_f32_e32 v13, v58, v50
	s_delay_alu instid0(VALU_DEP_3) | instskip(SKIP_1) | instid1(VALU_DEP_2)
	v_div_scale_f32 v48, null, v40, v40, 2.0
	v_div_scale_f32 v53, vcc_lo, 2.0, v40, 2.0
	v_rcp_f32_e32 v52, v48
	s_waitcnt_depctr 0xfff
	v_fma_f32 v16, -v48, v52, 1.0
	s_delay_alu instid0(VALU_DEP_1) | instskip(SKIP_2) | instid1(VALU_DEP_3)
	v_fmac_f32_e32 v52, v16, v52
	v_mul_f32_e32 v16, v49, v50
	v_fma_f32 v49, -v58, v50, v59
	v_mul_f32_e32 v60, v53, v52
	s_delay_alu instid0(VALU_DEP_3) | instskip(NEXT) | instid1(VALU_DEP_2)
	v_fma_f32 v25, -v16, v51, v25
	v_fma_f32 v12, -v48, v60, v53
	s_delay_alu instid0(VALU_DEP_1) | instskip(SKIP_2) | instid1(VALU_DEP_3)
	v_fmac_f32_e32 v60, v12, v52
	v_fma_f32 v12, -v54, v50, v47
	v_fma_f32 v47, -v56, v50, v55
	;; [unrolled: 1-line block ×4, first 2 shown]
	global_store_b32 v[35:36], v12, off
	global_store_b32 v[43:44], v47, off
	global_store_b32 v[33:34], v48, off
	v_div_fmas_f32 v14, v14, v52, v60
	global_store_b32 v[45:46], v49, off
	global_store_b32 v[3:4], v26, off
	;; [unrolled: 1-line block ×3, first 2 shown]
	s_and_not1_b32 vcc_lo, exec_lo, s26
	global_store_b32 v[9:10], v25, off
	v_div_fixup_f32 v12, v14, v40, 2.0
	s_delay_alu instid0(VALU_DEP_1) | instskip(SKIP_1) | instid1(VALU_DEP_2)
	v_mul_f32_e32 v14, v61, v12
	v_fma_f32 v3, -v61, v12, v65
	v_fma_f32 v7, -v51, v14, v23
	s_waitcnt vmcnt(0)
	v_fma_f32 v4, -v13, v51, v39
	global_store_b32 v[37:38], v3, off
	global_store_b32 v[41:42], v4, off
	global_store_b32 v[5:6], v7, off
	s_cbranch_vccnz .LBB1_3
; %bb.8:                                ;   in Loop: Header=BB1_4 Depth=1
	v_ashrrev_i32_e32 v12, 31, v11
	v_fma_f32 v16, -v16, v15, v2
	v_ashrrev_i32_e32 v2, 31, v1
	v_fma_f32 v13, -v13, v15, v28
	v_fma_f32 v14, -v15, v14, v24
	v_lshlrev_b64 v[3:4], 2, v[11:12]
	v_fma_f32 v11, -v32, v15, v31
	v_lshlrev_b64 v[1:2], 2, v[1:2]
	v_fma_f32 v12, -v29, v15, v30
	s_delay_alu instid0(VALU_DEP_4)
	v_add_co_u32 v5, vcc_lo, s16, v3
	v_add_co_ci_u32_e32 v6, vcc_lo, s17, v4, vcc_lo
	v_add_co_u32 v7, vcc_lo, s18, v3
	v_add_co_ci_u32_e32 v8, vcc_lo, s19, v4, vcc_lo
	;; [unrolled: 2-line block ×3, first 2 shown]
	global_store_b32 v[5:6], v15, off
	v_add_co_u32 v5, vcc_lo, s14, v3
	v_add_co_ci_u32_e32 v6, vcc_lo, s15, v4, vcc_lo
	v_add_co_u32 v3, vcc_lo, s22, v3
	v_add_co_ci_u32_e32 v4, vcc_lo, s23, v4, vcc_lo
	;; [unrolled: 2-line block ×3, first 2 shown]
	global_store_b32 v[7:8], v11, off
	global_store_b32 v[9:10], v12, off
	;; [unrolled: 1-line block ×5, first 2 shown]
	s_branch .LBB1_3
.LBB1_9:
	s_cmp_lt_i32 s4, 1
	s_cbranch_scc1 .LBB1_22
; %bb.10:
	s_waitcnt vmcnt(2)
	v_mad_u64_u32 v[1:2], null, s5, s24, v[0:1]
	s_load_b64 s[0:1], s[0:1], 0x38
	s_add_i32 s2, s4, 3
	s_delay_alu instid0(VALU_DEP_1) | instid1(SALU_CYCLE_1)
	v_mad_u64_u32 v[2:3], null, s6, s2, v[0:1]
	s_add_i32 s2, s4, 2
	s_delay_alu instid0(SALU_CYCLE_1) | instskip(SKIP_1) | instid1(SALU_CYCLE_1)
	v_mad_u64_u32 v[3:4], null, s6, s2, v[0:1]
	s_add_i32 s2, s4, 1
	v_mad_u64_u32 v[4:5], null, s6, s2, v[0:1]
	v_mad_u64_u32 v[5:6], null, s6, s4, v[0:1]
	;; [unrolled: 1-line block ×3, first 2 shown]
	s_mov_b32 s2, s4
	s_branch .LBB1_12
.LBB1_11:                               ;   in Loop: Header=BB1_12 Depth=1
	s_waitcnt lgkmcnt(0)
	s_delay_alu instid0(VALU_DEP_1)
	v_add_co_u32 v9, vcc_lo, s20, v9
	v_lshlrev_b64 v[7:8], 2, v[7:8]
	v_add_co_ci_u32_e32 v10, vcc_lo, s21, v10, vcc_lo
	v_subrev_nc_u32_e32 v1, s5, v1
	v_subrev_nc_u32_e32 v2, s6, v2
	;; [unrolled: 1-line block ×3, first 2 shown]
	global_load_b32 v11, v[9:10], off
	v_add_co_u32 v9, vcc_lo, s12, v7
	v_add_co_ci_u32_e32 v10, vcc_lo, s13, v8, vcc_lo
	v_subrev_nc_u32_e32 v4, s6, v4
	v_subrev_nc_u32_e32 v5, s6, v5
	;; [unrolled: 1-line block ×3, first 2 shown]
	global_load_b32 v9, v[9:10], off
	s_add_i32 s2, s2, -1
	s_delay_alu instid0(SALU_CYCLE_1) | instskip(SKIP_3) | instid1(VALU_DEP_1)
	s_cmp_gt_i32 s2, 0
	s_waitcnt vmcnt(1)
	v_sub_f32_e32 v0, v11, v0
	s_waitcnt vmcnt(0)
	v_div_scale_f32 v10, null, v9, v9, v0
	s_delay_alu instid0(VALU_DEP_1) | instskip(SKIP_2) | instid1(VALU_DEP_1)
	v_rcp_f32_e32 v11, v10
	s_waitcnt_depctr 0xfff
	v_fma_f32 v12, -v10, v11, 1.0
	v_fmac_f32_e32 v11, v12, v11
	v_div_scale_f32 v13, vcc_lo, v0, v9, v0
	s_delay_alu instid0(VALU_DEP_1) | instskip(NEXT) | instid1(VALU_DEP_1)
	v_mul_f32_e32 v12, v13, v11
	v_fma_f32 v14, -v10, v12, v13
	s_delay_alu instid0(VALU_DEP_1) | instskip(NEXT) | instid1(VALU_DEP_1)
	v_fmac_f32_e32 v12, v14, v11
	v_fma_f32 v10, -v10, v12, v13
	s_delay_alu instid0(VALU_DEP_1) | instskip(SKIP_2) | instid1(VALU_DEP_3)
	v_div_fmas_f32 v10, v10, v11, v12
	v_add_co_u32 v7, vcc_lo, s0, v7
	v_add_co_ci_u32_e32 v8, vcc_lo, s1, v8, vcc_lo
	v_div_fixup_f32 v0, v10, v9, v0
	global_store_b32 v[7:8], v0, off
	s_cbranch_scc0 .LBB1_22
.LBB1_12:                               ; =>This Inner Loop Header: Depth=1
	s_delay_alu instid0(VALU_DEP_1) | instskip(SKIP_1) | instid1(VALU_DEP_1)
	v_dual_mov_b32 v0, 0 :: v_dual_add_nc_u32 v7, s7, v6
	s_cmp_ge_i32 s2, s4
	v_ashrrev_i32_e32 v8, 31, v7
	s_cbranch_scc1 .LBB1_14
; %bb.13:                               ;   in Loop: Header=BB1_12 Depth=1
	v_add_nc_u32_e32 v9, s7, v5
	s_delay_alu instid0(VALU_DEP_2) | instskip(NEXT) | instid1(VALU_DEP_2)
	v_lshlrev_b64 v[11:12], 2, v[7:8]
	v_ashrrev_i32_e32 v10, 31, v9
	s_waitcnt lgkmcnt(0)
	s_delay_alu instid0(VALU_DEP_2) | instskip(NEXT) | instid1(VALU_DEP_3)
	v_add_co_u32 v11, vcc_lo, s14, v11
	v_add_co_ci_u32_e32 v12, vcc_lo, s15, v12, vcc_lo
	s_delay_alu instid0(VALU_DEP_3) | instskip(NEXT) | instid1(VALU_DEP_1)
	v_lshlrev_b64 v[9:10], 2, v[9:10]
	v_add_co_u32 v9, vcc_lo, s0, v9
	s_delay_alu instid0(VALU_DEP_2)
	v_add_co_ci_u32_e32 v10, vcc_lo, s1, v10, vcc_lo
	global_load_b32 v0, v[11:12], off
	global_load_b32 v9, v[9:10], off
	s_waitcnt vmcnt(0)
	v_fma_f32 v0, v0, v9, 0
.LBB1_14:                               ;   in Loop: Header=BB1_12 Depth=1
	s_add_i32 s3, s2, 1
	s_delay_alu instid0(SALU_CYCLE_1)
	s_cmp_ge_i32 s3, s4
	s_cbranch_scc1 .LBB1_16
; %bb.15:                               ;   in Loop: Header=BB1_12 Depth=1
	v_add_nc_u32_e32 v9, s7, v4
	v_lshlrev_b64 v[11:12], 2, v[7:8]
	s_delay_alu instid0(VALU_DEP_2) | instskip(SKIP_1) | instid1(VALU_DEP_2)
	v_ashrrev_i32_e32 v10, 31, v9
	s_waitcnt lgkmcnt(0)
	v_add_co_u32 v11, vcc_lo, s22, v11
	s_delay_alu instid0(VALU_DEP_3) | instskip(NEXT) | instid1(VALU_DEP_3)
	v_add_co_ci_u32_e32 v12, vcc_lo, s23, v12, vcc_lo
	v_lshlrev_b64 v[9:10], 2, v[9:10]
	s_delay_alu instid0(VALU_DEP_1) | instskip(NEXT) | instid1(VALU_DEP_2)
	v_add_co_u32 v9, vcc_lo, s0, v9
	v_add_co_ci_u32_e32 v10, vcc_lo, s1, v10, vcc_lo
	global_load_b32 v11, v[11:12], off
	global_load_b32 v9, v[9:10], off
	s_waitcnt vmcnt(0)
	v_fmac_f32_e32 v0, v11, v9
.LBB1_16:                               ;   in Loop: Header=BB1_12 Depth=1
	v_add_nc_u32_e32 v9, s7, v1
	s_add_i32 s3, s2, 2
	s_delay_alu instid0(SALU_CYCLE_1) | instskip(NEXT) | instid1(VALU_DEP_1)
	s_cmp_lt_i32 s3, s4
	v_ashrrev_i32_e32 v10, 31, v9
	s_cbranch_scc1 .LBB1_21
; %bb.17:                               ;   in Loop: Header=BB1_12 Depth=1
	s_cbranch_execnz .LBB1_19
.LBB1_18:                               ;   in Loop: Header=BB1_12 Depth=1
	v_add_nc_u32_e32 v11, s7, v3
	s_delay_alu instid0(VALU_DEP_2) | instskip(NEXT) | instid1(VALU_DEP_2)
	v_lshlrev_b64 v[13:14], 2, v[9:10]
	v_ashrrev_i32_e32 v12, 31, v11
	s_waitcnt lgkmcnt(0)
	s_delay_alu instid0(VALU_DEP_2) | instskip(NEXT) | instid1(VALU_DEP_3)
	v_add_co_u32 v13, vcc_lo, s8, v13
	v_add_co_ci_u32_e32 v14, vcc_lo, s9, v14, vcc_lo
	s_delay_alu instid0(VALU_DEP_3) | instskip(NEXT) | instid1(VALU_DEP_1)
	v_lshlrev_b64 v[11:12], 2, v[11:12]
	v_add_co_u32 v11, vcc_lo, s0, v11
	s_delay_alu instid0(VALU_DEP_2)
	v_add_co_ci_u32_e32 v12, vcc_lo, s1, v12, vcc_lo
	global_load_b32 v13, v[13:14], off
	global_load_b32 v11, v[11:12], off
	s_waitcnt vmcnt(0)
	v_fmac_f32_e32 v0, v13, v11
.LBB1_19:                               ;   in Loop: Header=BB1_12 Depth=1
	s_delay_alu instid0(VALU_DEP_1) | instskip(SKIP_1) | instid1(SALU_CYCLE_1)
	v_lshlrev_b64 v[9:10], 2, v[9:10]
	s_add_i32 s3, s2, 3
	s_cmp_ge_i32 s3, s4
	s_cbranch_scc1 .LBB1_11
; %bb.20:                               ;   in Loop: Header=BB1_12 Depth=1
	v_add_nc_u32_e32 v11, s7, v2
	s_waitcnt lgkmcnt(0)
	v_add_co_u32 v13, vcc_lo, s10, v9
	v_add_co_ci_u32_e32 v14, vcc_lo, s11, v10, vcc_lo
	s_delay_alu instid0(VALU_DEP_3) | instskip(NEXT) | instid1(VALU_DEP_1)
	v_ashrrev_i32_e32 v12, 31, v11
	v_lshlrev_b64 v[11:12], 2, v[11:12]
	s_delay_alu instid0(VALU_DEP_1) | instskip(NEXT) | instid1(VALU_DEP_2)
	v_add_co_u32 v11, vcc_lo, s0, v11
	v_add_co_ci_u32_e32 v12, vcc_lo, s1, v12, vcc_lo
	global_load_b32 v13, v[13:14], off
	global_load_b32 v11, v[11:12], off
	s_waitcnt vmcnt(0)
	v_fmac_f32_e32 v0, v13, v11
	s_branch .LBB1_11
.LBB1_21:                               ;   in Loop: Header=BB1_12 Depth=1
	s_branch .LBB1_18
.LBB1_22:
	s_nop 0
	s_sendmsg sendmsg(MSG_DEALLOC_VGPRS)
	s_endpgm
	.section	.rodata,"a",@progbits
	.p2align	6, 0x0
	.amdhsa_kernel _ZN9rocsparseL44gpsv_interleaved_batch_householder_qr_kernelILj256EfEEviiiPT0_S2_S2_S2_S2_S2_S2_S2_S2_
		.amdhsa_group_segment_fixed_size 0
		.amdhsa_private_segment_fixed_size 0
		.amdhsa_kernarg_size 344
		.amdhsa_user_sgpr_count 15
		.amdhsa_user_sgpr_dispatch_ptr 0
		.amdhsa_user_sgpr_queue_ptr 0
		.amdhsa_user_sgpr_kernarg_segment_ptr 1
		.amdhsa_user_sgpr_dispatch_id 0
		.amdhsa_user_sgpr_private_segment_size 0
		.amdhsa_wavefront_size32 1
		.amdhsa_uses_dynamic_stack 0
		.amdhsa_enable_private_segment 0
		.amdhsa_system_sgpr_workgroup_id_x 1
		.amdhsa_system_sgpr_workgroup_id_y 0
		.amdhsa_system_sgpr_workgroup_id_z 0
		.amdhsa_system_sgpr_workgroup_info 0
		.amdhsa_system_vgpr_workitem_id 0
		.amdhsa_next_free_vgpr 66
		.amdhsa_next_free_sgpr 28
		.amdhsa_reserve_vcc 1
		.amdhsa_float_round_mode_32 0
		.amdhsa_float_round_mode_16_64 0
		.amdhsa_float_denorm_mode_32 3
		.amdhsa_float_denorm_mode_16_64 3
		.amdhsa_dx10_clamp 1
		.amdhsa_ieee_mode 1
		.amdhsa_fp16_overflow 0
		.amdhsa_workgroup_processor_mode 1
		.amdhsa_memory_ordered 1
		.amdhsa_forward_progress 0
		.amdhsa_shared_vgpr_count 0
		.amdhsa_exception_fp_ieee_invalid_op 0
		.amdhsa_exception_fp_denorm_src 0
		.amdhsa_exception_fp_ieee_div_zero 0
		.amdhsa_exception_fp_ieee_overflow 0
		.amdhsa_exception_fp_ieee_underflow 0
		.amdhsa_exception_fp_ieee_inexact 0
		.amdhsa_exception_int_div_zero 0
	.end_amdhsa_kernel
	.section	.text._ZN9rocsparseL44gpsv_interleaved_batch_householder_qr_kernelILj256EfEEviiiPT0_S2_S2_S2_S2_S2_S2_S2_S2_,"axG",@progbits,_ZN9rocsparseL44gpsv_interleaved_batch_householder_qr_kernelILj256EfEEviiiPT0_S2_S2_S2_S2_S2_S2_S2_S2_,comdat
.Lfunc_end1:
	.size	_ZN9rocsparseL44gpsv_interleaved_batch_householder_qr_kernelILj256EfEEviiiPT0_S2_S2_S2_S2_S2_S2_S2_S2_, .Lfunc_end1-_ZN9rocsparseL44gpsv_interleaved_batch_householder_qr_kernelILj256EfEEviiiPT0_S2_S2_S2_S2_S2_S2_S2_S2_
                                        ; -- End function
	.section	.AMDGPU.csdata,"",@progbits
; Kernel info:
; codeLenInByte = 2648
; NumSgprs: 30
; NumVgprs: 66
; ScratchSize: 0
; MemoryBound: 0
; FloatMode: 240
; IeeeMode: 1
; LDSByteSize: 0 bytes/workgroup (compile time only)
; SGPRBlocks: 3
; VGPRBlocks: 8
; NumSGPRsForWavesPerEU: 30
; NumVGPRsForWavesPerEU: 66
; Occupancy: 16
; WaveLimiterHint : 0
; COMPUTE_PGM_RSRC2:SCRATCH_EN: 0
; COMPUTE_PGM_RSRC2:USER_SGPR: 15
; COMPUTE_PGM_RSRC2:TRAP_HANDLER: 0
; COMPUTE_PGM_RSRC2:TGID_X_EN: 1
; COMPUTE_PGM_RSRC2:TGID_Y_EN: 0
; COMPUTE_PGM_RSRC2:TGID_Z_EN: 0
; COMPUTE_PGM_RSRC2:TIDIG_COMP_CNT: 0
	.section	.text._ZN9rocsparseL39gpsv_interleaved_batch_givens_qr_kernelILj128EfEEviiiPT0_S2_S2_S2_S2_S2_S2_S2_,"axG",@progbits,_ZN9rocsparseL39gpsv_interleaved_batch_givens_qr_kernelILj128EfEEviiiPT0_S2_S2_S2_S2_S2_S2_S2_,comdat
	.globl	_ZN9rocsparseL39gpsv_interleaved_batch_givens_qr_kernelILj128EfEEviiiPT0_S2_S2_S2_S2_S2_S2_S2_ ; -- Begin function _ZN9rocsparseL39gpsv_interleaved_batch_givens_qr_kernelILj128EfEEviiiPT0_S2_S2_S2_S2_S2_S2_S2_
	.p2align	8
	.type	_ZN9rocsparseL39gpsv_interleaved_batch_givens_qr_kernelILj128EfEEviiiPT0_S2_S2_S2_S2_S2_S2_S2_,@function
_ZN9rocsparseL39gpsv_interleaved_batch_givens_qr_kernelILj128EfEEviiiPT0_S2_S2_S2_S2_S2_S2_S2_: ; @_ZN9rocsparseL39gpsv_interleaved_batch_givens_qr_kernelILj128EfEEviiiPT0_S2_S2_S2_S2_S2_S2_S2_
; %bb.0:
	s_load_b128 s[16:19], s[0:1], 0x0
	s_waitcnt lgkmcnt(0)
	s_lshl_b32 s19, s15, 7
	s_mov_b32 s2, exec_lo
	v_or_b32_e32 v1, s19, v0
	s_delay_alu instid0(VALU_DEP_1)
	v_cmpx_gt_i32_e64 s17, v1
	s_cbranch_execz .LBB2_7
; %bb.1:
	s_clause 0x2
	s_load_b64 s[2:3], s[0:1], 0x48
	s_load_b128 s[12:15], s[0:1], 0x38
	s_load_b256 s[4:11], s[0:1], 0x18
	s_add_i32 s22, s16, -2
	s_cmp_lt_i32 s16, 3
	s_cbranch_scc1 .LBB2_4
; %bb.2:
	s_load_b64 s[20:21], s[0:1], 0x10
	v_mov_b32_e32 v3, v1
	v_mov_b32_e32 v2, v1
	s_lshl_b32 s1, s18, 1
	s_mov_b32 s23, s22
.LBB2_3:                                ; =>This Inner Loop Header: Depth=1
	s_delay_alu instid0(VALU_DEP_2) | instskip(SKIP_2) | instid1(SALU_CYCLE_1)
	v_add_nc_u32_e32 v4, s1, v3
	v_add_nc_u32_e32 v6, s18, v3
	s_add_i32 s23, s23, -1
	s_cmp_eq_u32 s23, 0
	s_delay_alu instid0(VALU_DEP_2) | instskip(NEXT) | instid1(VALU_DEP_2)
	v_ashrrev_i32_e32 v5, 31, v4
	v_ashrrev_i32_e32 v7, 31, v6
	s_delay_alu instid0(VALU_DEP_2) | instskip(NEXT) | instid1(VALU_DEP_2)
	v_lshlrev_b64 v[4:5], 2, v[4:5]
	v_lshlrev_b64 v[7:8], 2, v[6:7]
	s_waitcnt lgkmcnt(0)
	s_delay_alu instid0(VALU_DEP_2) | instskip(NEXT) | instid1(VALU_DEP_3)
	v_add_co_u32 v9, vcc_lo, s20, v4
	v_add_co_ci_u32_e32 v10, vcc_lo, s21, v5, vcc_lo
	s_delay_alu instid0(VALU_DEP_3) | instskip(NEXT) | instid1(VALU_DEP_4)
	v_add_co_u32 v11, vcc_lo, s4, v7
	v_add_co_ci_u32_e32 v12, vcc_lo, s5, v8, vcc_lo
	global_load_b32 v39, v[9:10], off
	global_load_b32 v40, v[11:12], off
	v_add_co_u32 v9, vcc_lo, s4, v4
	v_add_co_ci_u32_e32 v10, vcc_lo, s5, v5, vcc_lo
	v_add_co_u32 v13, vcc_lo, s6, v7
	v_add_co_ci_u32_e32 v14, vcc_lo, s7, v8, vcc_lo
	;; [unrolled: 2-line block ×4, first 2 shown]
	global_load_b32 v41, v[15:16], off
	global_load_b32 v42, v[9:10], off
	;; [unrolled: 1-line block ×4, first 2 shown]
	v_add_co_u32 v19, vcc_lo, s8, v4
	v_add_co_ci_u32_e32 v20, vcc_lo, s9, v5, vcc_lo
	v_add_co_u32 v21, vcc_lo, s10, v7
	v_add_co_ci_u32_e32 v22, vcc_lo, s11, v8, vcc_lo
	;; [unrolled: 2-line block ×3, first 2 shown]
	v_add_co_u32 v25, vcc_lo, s2, v4
	v_ashrrev_i32_e32 v4, 31, v3
	v_add_co_ci_u32_e32 v26, vcc_lo, s3, v5, vcc_lo
	v_add_co_u32 v7, vcc_lo, s2, v7
	s_delay_alu instid0(VALU_DEP_3)
	v_lshlrev_b64 v[4:5], 2, v[3:4]
	v_add_co_ci_u32_e32 v8, vcc_lo, s3, v8, vcc_lo
	global_load_b32 v45, v[19:20], off
	global_load_b32 v46, v[23:24], off
	s_clause 0x1
	global_load_b32 v47, v[25:26], off
	global_load_b32 v48, v[7:8], off
	;; [unrolled: 1-line block ×3, first 2 shown]
	v_add_co_u32 v27, vcc_lo, s6, v4
	v_add_co_ci_u32_e32 v28, vcc_lo, s7, v5, vcc_lo
	s_waitcnt vmcnt(10)
	v_mul_f32_e32 v3, v39, v39
	s_waitcnt vmcnt(9)
	s_delay_alu instid0(VALU_DEP_1) | instskip(NEXT) | instid1(VALU_DEP_1)
	v_fmac_f32_e32 v3, v40, v40
	v_mul_f32_e32 v29, 0x4f800000, v3
	v_cmp_gt_f32_e32 vcc_lo, 0xf800000, v3
	s_delay_alu instid0(VALU_DEP_2) | instskip(NEXT) | instid1(VALU_DEP_1)
	v_cndmask_b32_e32 v3, v3, v29, vcc_lo
	v_sqrt_f32_e32 v29, v3
	s_waitcnt_depctr 0xfff
	v_add_nc_u32_e32 v30, -1, v29
	v_add_nc_u32_e32 v31, 1, v29
	s_delay_alu instid0(VALU_DEP_2) | instskip(NEXT) | instid1(VALU_DEP_2)
	v_fma_f32 v32, -v30, v29, v3
	v_fma_f32 v33, -v31, v29, v3
	s_delay_alu instid0(VALU_DEP_2) | instskip(NEXT) | instid1(VALU_DEP_1)
	v_cmp_ge_f32_e64 s0, 0, v32
	v_cndmask_b32_e64 v29, v29, v30, s0
	s_delay_alu instid0(VALU_DEP_3) | instskip(NEXT) | instid1(VALU_DEP_1)
	v_cmp_lt_f32_e64 s0, 0, v33
	v_cndmask_b32_e64 v29, v29, v31, s0
	s_delay_alu instid0(VALU_DEP_1) | instskip(NEXT) | instid1(VALU_DEP_1)
	v_mul_f32_e32 v30, 0x37800000, v29
	v_cndmask_b32_e32 v29, v29, v30, vcc_lo
	v_cmp_class_f32_e64 vcc_lo, v3, 0x260
	s_delay_alu instid0(VALU_DEP_2) | instskip(NEXT) | instid1(VALU_DEP_1)
	v_cndmask_b32_e32 v3, v29, v3, vcc_lo
	v_div_scale_f32 v31, null, v3, v3, v39
	v_div_scale_f32 v29, null, v3, v3, v40
	v_div_scale_f32 v32, s0, v39, v3, v39
	s_delay_alu instid0(VALU_DEP_3) | instskip(NEXT) | instid1(VALU_DEP_2)
	v_rcp_f32_e32 v34, v31
	v_rcp_f32_e32 v33, v29
	v_div_scale_f32 v30, vcc_lo, v40, v3, v40
	s_waitcnt_depctr 0xfff
	v_fma_f32 v36, -v31, v34, 1.0
	v_fma_f32 v35, -v29, v33, 1.0
	s_delay_alu instid0(VALU_DEP_2) | instskip(NEXT) | instid1(VALU_DEP_1)
	v_fmac_f32_e32 v34, v36, v34
	v_mul_f32_e32 v36, v32, v34
	s_delay_alu instid0(VALU_DEP_1) | instskip(NEXT) | instid1(VALU_DEP_1)
	v_fma_f32 v38, -v31, v36, v32
	v_dual_fmac_f32 v33, v35, v33 :: v_dual_fmac_f32 v36, v38, v34
	s_delay_alu instid0(VALU_DEP_1) | instskip(NEXT) | instid1(VALU_DEP_1)
	v_mul_f32_e32 v35, v30, v33
	v_fma_f32 v37, -v29, v35, v30
	s_delay_alu instid0(VALU_DEP_1) | instskip(NEXT) | instid1(VALU_DEP_1)
	v_fmac_f32_e32 v35, v37, v33
	v_fma_f32 v29, -v29, v35, v30
	v_fma_f32 v30, -v31, v36, v32
	s_delay_alu instid0(VALU_DEP_2) | instskip(SKIP_1) | instid1(VALU_DEP_2)
	v_div_fmas_f32 v29, v29, v33, v35
	s_mov_b32 vcc_lo, s0
	v_div_fmas_f32 v30, v30, v34, v36
	v_add_co_u32 v31, vcc_lo, s8, v4
	s_delay_alu instid0(VALU_DEP_3) | instskip(SKIP_1) | instid1(VALU_DEP_4)
	v_div_fixup_f32 v50, v29, v3, v40
	v_add_co_ci_u32_e32 v32, vcc_lo, s9, v5, vcc_lo
	v_div_fixup_f32 v51, v30, v3, v39
	v_add_co_u32 v33, vcc_lo, s10, v4
	s_waitcnt vmcnt(8)
	v_mul_f32_e32 v3, v41, v50
	v_add_co_ci_u32_e32 v34, vcc_lo, s11, v5, vcc_lo
	s_waitcnt vmcnt(7)
	v_mul_f32_e32 v52, v42, v51
	v_mul_f32_e32 v41, v41, v51
	s_waitcnt vmcnt(5)
	v_fma_f32 v3, -v44, v51, v3
	s_delay_alu instid0(VALU_DEP_3)
	v_fmac_f32_e32 v52, v43, v50
	s_clause 0x1
	global_store_b32 v[13:14], v52, off
	global_store_b32 v[15:16], v3, off
	global_load_b32 v53, v[27:28], off
	v_ashrrev_i32_e32 v3, 31, v2
	v_add_nc_u32_e32 v15, s17, v2
	s_delay_alu instid0(VALU_DEP_2) | instskip(NEXT) | instid1(VALU_DEP_2)
	v_lshlrev_b64 v[29:30], 2, v[2:3]
	v_ashrrev_i32_e32 v16, 31, v15
	s_delay_alu instid0(VALU_DEP_1) | instskip(NEXT) | instid1(VALU_DEP_3)
	v_lshlrev_b64 v[2:3], 2, v[15:16]
	v_add_co_u32 v35, vcc_lo, s12, v29
	s_delay_alu instid0(VALU_DEP_4)
	v_add_co_ci_u32_e32 v36, vcc_lo, s13, v30, vcc_lo
	v_add_co_u32 v4, vcc_lo, s2, v4
	v_add_co_ci_u32_e32 v5, vcc_lo, s3, v5, vcc_lo
	v_add_co_u32 v37, vcc_lo, s12, v2
	s_waitcnt vmcnt(5)
	v_mul_f32_e32 v2, v50, v45
	v_mul_f32_e32 v45, v51, v45
	v_add_co_ci_u32_e32 v38, vcc_lo, s13, v3, vcc_lo
	s_waitcnt vmcnt(4)
	v_mul_f32_e32 v3, v50, v46
	s_waitcnt vmcnt(3)
	v_mul_f32_e32 v16, v50, v47
	v_mul_f32_e32 v46, v51, v46
	;; [unrolled: 1-line block ×3, first 2 shown]
	v_fmac_f32_e32 v41, v44, v50
	s_waitcnt vmcnt(1)
	v_fma_f32 v2, -v49, v51, v2
	v_fmac_f32_e32 v45, v49, v50
	global_store_b32 v[37:38], v46, off
	v_fmac_f32_e32 v47, v48, v50
	v_fma_f32 v16, -v48, v51, v16
	global_load_b32 v44, v[35:36], off
	s_clause 0x1
	global_store_b32 v[17:18], v41, off
	global_store_b32 v[19:20], v2, off
	s_clause 0x1
	global_store_b32 v[21:22], v45, off
	global_store_b32 v[23:24], v3, off
	;; [unrolled: 3-line block ×3, first 2 shown]
	global_load_b32 v19, v[7:8], off
	global_load_b32 v20, v[31:32], off
	;; [unrolled: 1-line block ×4, first 2 shown]
	v_mul_f32_e32 v25, v39, v51
	s_delay_alu instid0(VALU_DEP_1) | instskip(NEXT) | instid1(VALU_DEP_1)
	v_fmac_f32_e32 v25, v40, v50
	v_mul_f32_e32 v26, v25, v25
	v_mov_b32_e32 v2, v15
	v_add_co_u32 v15, vcc_lo, s14, v29
	v_add_co_ci_u32_e32 v16, vcc_lo, s15, v30, vcc_lo
	s_waitcnt vmcnt(5)
	v_dual_fmac_f32 v26, v53, v53 :: v_dual_mov_b32 v3, v6
	v_mul_f32_e32 v6, v42, v50
	s_delay_alu instid0(VALU_DEP_2) | instskip(NEXT) | instid1(VALU_DEP_2)
	v_cmp_gt_f32_e32 vcc_lo, 0xf800000, v26
	v_fma_f32 v6, -v43, v51, v6
	s_clause 0x1
	global_store_b32 v[11:12], v25, off
	global_store_b32 v[9:10], v6, off
	v_mul_f32_e32 v6, 0x4f800000, v26
	s_delay_alu instid0(VALU_DEP_1) | instskip(NEXT) | instid1(VALU_DEP_1)
	v_cndmask_b32_e32 v6, v26, v6, vcc_lo
	v_sqrt_f32_e32 v9, v6
	s_waitcnt_depctr 0xfff
	v_add_nc_u32_e32 v10, -1, v9
	v_add_nc_u32_e32 v11, 1, v9
	s_delay_alu instid0(VALU_DEP_2) | instskip(NEXT) | instid1(VALU_DEP_2)
	v_fma_f32 v12, -v10, v9, v6
	v_fma_f32 v26, -v11, v9, v6
	s_delay_alu instid0(VALU_DEP_2) | instskip(NEXT) | instid1(VALU_DEP_1)
	v_cmp_ge_f32_e64 s0, 0, v12
	v_cndmask_b32_e64 v9, v9, v10, s0
	s_delay_alu instid0(VALU_DEP_3) | instskip(NEXT) | instid1(VALU_DEP_1)
	v_cmp_lt_f32_e64 s0, 0, v26
	v_cndmask_b32_e64 v9, v9, v11, s0
	s_delay_alu instid0(VALU_DEP_1) | instskip(NEXT) | instid1(VALU_DEP_1)
	v_mul_f32_e32 v10, 0x37800000, v9
	v_cndmask_b32_e32 v9, v9, v10, vcc_lo
	v_cmp_class_f32_e64 vcc_lo, v6, 0x260
	s_delay_alu instid0(VALU_DEP_2) | instskip(NEXT) | instid1(VALU_DEP_1)
	v_cndmask_b32_e32 v6, v9, v6, vcc_lo
	v_div_scale_f32 v9, null, v6, v6, v53
	v_div_scale_f32 v10, vcc_lo, v53, v6, v53
	s_delay_alu instid0(VALU_DEP_2) | instskip(SKIP_2) | instid1(VALU_DEP_1)
	v_rcp_f32_e32 v26, v9
	s_waitcnt_depctr 0xfff
	v_fma_f32 v30, -v9, v26, 1.0
	v_fmac_f32_e32 v26, v30, v26
	s_delay_alu instid0(VALU_DEP_1) | instskip(NEXT) | instid1(VALU_DEP_1)
	v_mul_f32_e32 v30, v10, v26
	v_fma_f32 v40, -v9, v30, v10
	s_delay_alu instid0(VALU_DEP_1) | instskip(NEXT) | instid1(VALU_DEP_1)
	v_fmac_f32_e32 v30, v40, v26
	v_fma_f32 v9, -v9, v30, v10
	s_delay_alu instid0(VALU_DEP_1) | instskip(NEXT) | instid1(VALU_DEP_1)
	v_div_fmas_f32 v9, v9, v26, v30
	v_div_fixup_f32 v9, v9, v6, v53
	s_delay_alu instid0(VALU_DEP_1) | instskip(SKIP_2) | instid1(VALU_DEP_1)
	v_mul_f32_e32 v26, v46, v9
	v_div_scale_f32 v11, null, v6, v6, v25
	v_div_scale_f32 v12, s0, v25, v6, v25
	s_mov_b32 vcc_lo, s0
	s_delay_alu instid0(VALU_DEP_2) | instskip(SKIP_2) | instid1(VALU_DEP_1)
	v_rcp_f32_e32 v29, v11
	s_waitcnt_depctr 0xfff
	v_fma_f32 v39, -v11, v29, 1.0
	v_fmac_f32_e32 v29, v39, v29
	s_delay_alu instid0(VALU_DEP_1) | instskip(NEXT) | instid1(VALU_DEP_1)
	v_mul_f32_e32 v39, v12, v29
	v_fma_f32 v42, -v11, v39, v12
	s_delay_alu instid0(VALU_DEP_1) | instskip(NEXT) | instid1(VALU_DEP_1)
	v_fmac_f32_e32 v39, v42, v29
	v_fma_f32 v10, -v11, v39, v12
	v_mul_f32_e32 v12, v45, v9
	s_delay_alu instid0(VALU_DEP_2) | instskip(SKIP_2) | instid1(VALU_DEP_2)
	v_div_fmas_f32 v10, v10, v29, v39
	s_waitcnt vmcnt(3)
	v_mul_f32_e32 v29, v9, v19
	v_div_fixup_f32 v6, v10, v6, v25
	v_mul_f32_e32 v11, v41, v9
	v_mul_f32_e32 v10, v52, v9
	s_delay_alu instid0(VALU_DEP_3)
	v_mul_f32_e32 v30, v52, v6
	v_mul_f32_e32 v25, v25, v6
	v_dual_mul_f32 v40, v45, v6 :: v_dual_mul_f32 v19, v6, v19
	v_mul_f32_e32 v39, v41, v6
	s_waitcnt vmcnt(2)
	v_dual_mul_f32 v41, v46, v6 :: v_dual_fmac_f32 v30, v20, v9
	s_delay_alu instid0(VALU_DEP_3)
	v_fmac_f32_e32 v40, v44, v9
	v_fmac_f32_e32 v25, v53, v9
	v_fma_f32 v10, -v20, v6, v10
	s_waitcnt vmcnt(1)
	v_fma_f32 v11, -v23, v6, v11
	v_fmac_f32_e32 v39, v23, v9
	v_fma_f32 v12, -v44, v6, v12
	s_waitcnt vmcnt(0)
	v_fma_f32 v6, -v24, v6, v29
	global_store_b32 v[15:16], v41, off
	v_fmac_f32_e32 v19, v24, v9
	s_clause 0x1
	global_store_b32 v[27:28], v25, off
	global_store_b32 v[13:14], v10, off
	s_clause 0x1
	global_store_b32 v[31:32], v30, off
	global_store_b32 v[17:18], v11, off
	;; [unrolled: 3-line block ×5, first 2 shown]
	s_cbranch_scc0 .LBB2_3
.LBB2_4:
	s_add_i32 s1, s16, -1
	s_delay_alu instid0(SALU_CYCLE_1) | instskip(NEXT) | instid1(SALU_CYCLE_1)
	s_mul_i32 s1, s1, s18
	v_add_nc_u32_e32 v2, s1, v1
	s_sub_i32 s20, s1, s18
	s_delay_alu instid0(SALU_CYCLE_1) | instskip(NEXT) | instid1(VALU_DEP_2)
	v_add_nc_u32_e32 v4, s20, v1
	v_ashrrev_i32_e32 v3, 31, v2
	s_delay_alu instid0(VALU_DEP_2) | instskip(NEXT) | instid1(VALU_DEP_2)
	v_ashrrev_i32_e32 v5, 31, v4
	v_lshlrev_b64 v[2:3], 2, v[2:3]
	s_delay_alu instid0(VALU_DEP_2) | instskip(SKIP_1) | instid1(VALU_DEP_2)
	v_lshlrev_b64 v[4:5], 2, v[4:5]
	s_waitcnt lgkmcnt(0)
	v_add_co_u32 v6, vcc_lo, s4, v2
	s_delay_alu instid0(VALU_DEP_3) | instskip(NEXT) | instid1(VALU_DEP_3)
	v_add_co_ci_u32_e32 v7, vcc_lo, s5, v3, vcc_lo
	v_add_co_u32 v8, vcc_lo, s6, v4
	s_delay_alu instid0(VALU_DEP_4)
	v_add_co_ci_u32_e32 v9, vcc_lo, s7, v5, vcc_lo
	s_sub_i32 s4, s20, s18
	global_load_b32 v18, v[6:7], off
	global_load_b32 v19, v[8:9], off
	v_add_co_u32 v6, vcc_lo, s6, v2
	v_add_co_ci_u32_e32 v7, vcc_lo, s7, v3, vcc_lo
	v_add_co_u32 v10, vcc_lo, s2, v2
	v_add_co_ci_u32_e32 v11, vcc_lo, s3, v3, vcc_lo
	;; [unrolled: 2-line block ×4, first 2 shown]
	global_load_b32 v20, v[6:7], off
	global_load_b32 v21, v[10:11], off
	;; [unrolled: 1-line block ×4, first 2 shown]
	v_add_co_u32 v16, vcc_lo, s8, v2
	v_add_co_ci_u32_e32 v17, vcc_lo, s9, v3, vcc_lo
	v_add_co_u32 v4, vcc_lo, s10, v4
	v_add_co_ci_u32_e32 v5, vcc_lo, s11, v5, vcc_lo
	global_load_b32 v25, v[16:17], off
	global_load_b32 v27, v[4:5], off
	s_waitcnt vmcnt(7)
	v_mul_f32_e32 v24, v18, v18
	s_waitcnt vmcnt(6)
	s_delay_alu instid0(VALU_DEP_1) | instskip(NEXT) | instid1(VALU_DEP_1)
	v_fmac_f32_e32 v24, v19, v19
	v_mul_f32_e32 v26, 0x4f800000, v24
	v_cmp_gt_f32_e32 vcc_lo, 0xf800000, v24
	s_delay_alu instid0(VALU_DEP_2) | instskip(NEXT) | instid1(VALU_DEP_1)
	v_cndmask_b32_e32 v24, v24, v26, vcc_lo
	v_sqrt_f32_e32 v26, v24
	s_waitcnt_depctr 0xfff
	v_add_nc_u32_e32 v28, -1, v26
	v_add_nc_u32_e32 v29, 1, v26
	s_delay_alu instid0(VALU_DEP_2) | instskip(NEXT) | instid1(VALU_DEP_2)
	v_fma_f32 v30, -v28, v26, v24
	v_fma_f32 v31, -v29, v26, v24
	s_delay_alu instid0(VALU_DEP_2) | instskip(NEXT) | instid1(VALU_DEP_1)
	v_cmp_ge_f32_e64 s0, 0, v30
	v_cndmask_b32_e64 v26, v26, v28, s0
	s_delay_alu instid0(VALU_DEP_3) | instskip(NEXT) | instid1(VALU_DEP_1)
	v_cmp_lt_f32_e64 s0, 0, v31
	v_cndmask_b32_e64 v26, v26, v29, s0
	s_delay_alu instid0(VALU_DEP_1) | instskip(NEXT) | instid1(VALU_DEP_1)
	v_mul_f32_e32 v28, 0x37800000, v26
	v_cndmask_b32_e32 v26, v26, v28, vcc_lo
	v_cmp_class_f32_e64 vcc_lo, v24, 0x260
	s_delay_alu instid0(VALU_DEP_2) | instskip(NEXT) | instid1(VALU_DEP_1)
	v_cndmask_b32_e32 v24, v26, v24, vcc_lo
	v_div_scale_f32 v26, null, v24, v24, v19
	v_div_scale_f32 v28, null, v24, v24, v18
	v_div_scale_f32 v33, vcc_lo, v19, v24, v19
	s_delay_alu instid0(VALU_DEP_3) | instskip(NEXT) | instid1(VALU_DEP_2)
	v_rcp_f32_e32 v29, v26
	v_rcp_f32_e32 v30, v28
	s_waitcnt_depctr 0xfff
	v_fma_f32 v31, -v26, v29, 1.0
	v_fma_f32 v32, -v28, v30, 1.0
	s_delay_alu instid0(VALU_DEP_1) | instskip(SKIP_1) | instid1(VALU_DEP_2)
	v_dual_fmac_f32 v29, v31, v29 :: v_dual_fmac_f32 v30, v32, v30
	v_div_scale_f32 v31, s0, v18, v24, v18
	v_mul_f32_e32 v32, v33, v29
	s_delay_alu instid0(VALU_DEP_1) | instskip(NEXT) | instid1(VALU_DEP_1)
	v_fma_f32 v35, -v26, v32, v33
	v_fmac_f32_e32 v32, v35, v29
	s_delay_alu instid0(VALU_DEP_1) | instskip(NEXT) | instid1(VALU_DEP_1)
	v_fma_f32 v26, -v26, v32, v33
	v_div_fmas_f32 v26, v26, v29, v32
	s_mov_b32 vcc_lo, s0
	v_add_co_u32 v2, s0, s10, v2
	s_delay_alu instid0(VALU_DEP_1) | instskip(NEXT) | instid1(VALU_DEP_3)
	v_add_co_ci_u32_e64 v3, s0, s11, v3, s0
	v_div_fixup_f32 v29, v26, v24, v19
	v_mul_f32_e32 v34, v31, v30
	s_waitcnt vmcnt(4)
	s_delay_alu instid0(VALU_DEP_2) | instskip(NEXT) | instid1(VALU_DEP_2)
	v_mul_f32_e32 v26, v29, v21
	v_fma_f32 v36, -v28, v34, v31
	s_waitcnt vmcnt(1)
	s_delay_alu instid0(VALU_DEP_1) | instskip(NEXT) | instid1(VALU_DEP_1)
	v_dual_mul_f32 v35, v25, v29 :: v_dual_fmac_f32 v34, v36, v30
	v_fma_f32 v28, -v28, v34, v31
	s_delay_alu instid0(VALU_DEP_1) | instskip(NEXT) | instid1(VALU_DEP_1)
	v_div_fmas_f32 v28, v28, v30, v34
	v_div_fixup_f32 v28, v28, v24, v18
	v_mul_f32_e32 v24, v20, v29
	s_delay_alu instid0(VALU_DEP_2) | instskip(NEXT) | instid1(VALU_DEP_2)
	v_fma_f32 v26, -v23, v28, v26
	v_fma_f32 v24, -v22, v28, v24
	v_mul_f32_e32 v18, v18, v28
	v_mul_f32_e32 v20, v20, v28
	;; [unrolled: 1-line block ×3, first 2 shown]
	s_delay_alu instid0(VALU_DEP_4) | instskip(SKIP_1) | instid1(VALU_DEP_4)
	v_div_scale_f32 v30, null, v24, v24, v26
	v_div_scale_f32 v33, vcc_lo, v26, v24, v26
	v_fmac_f32_e32 v20, v22, v29
	s_delay_alu instid0(VALU_DEP_3) | instskip(SKIP_4) | instid1(VALU_DEP_1)
	v_rcp_f32_e32 v31, v30
	v_fmac_f32_e32 v18, v19, v29
	v_fmac_f32_e32 v21, v23, v29
	s_waitcnt_depctr 0xfff
	v_fma_f32 v32, -v30, v31, 1.0
	v_fmac_f32_e32 v31, v32, v31
	s_delay_alu instid0(VALU_DEP_1) | instskip(NEXT) | instid1(VALU_DEP_1)
	v_mul_f32_e32 v32, v33, v31
	v_fma_f32 v34, -v30, v32, v33
	s_delay_alu instid0(VALU_DEP_1)
	v_fmac_f32_e32 v32, v34, v31
	global_load_b32 v34, v[2:3], off
	s_waitcnt vmcnt(1)
	v_fma_f32 v22, -v27, v28, v35
	s_clause 0x1
	global_store_b32 v[12:13], v20, off
	global_store_b32 v[16:17], v22, off
	;; [unrolled: 1-line block ×3, first 2 shown]
	v_fma_f32 v30, -v30, v32, v33
	global_load_b32 v16, v[12:13], off
	v_mul_f32_e32 v35, v25, v28
	v_div_fmas_f32 v30, v30, v31, v32
	s_delay_alu instid0(VALU_DEP_2) | instskip(NEXT) | instid1(VALU_DEP_2)
	v_fmac_f32_e32 v35, v27, v29
	v_div_fixup_f32 v19, v30, v24, v26
	global_store_b32 v[10:11], v19, off
	global_load_b32 v17, v[14:15], off
	s_clause 0x1
	global_store_b32 v[8:9], v18, off
	global_store_b32 v[6:7], v24, off
	global_load_b32 v9, v[8:9], off
	v_mad_u64_u32 v[6:7], null, s22, s17, v[1:2]
	v_add_nc_u32_e32 v18, s4, v1
	s_delay_alu instid0(VALU_DEP_2) | instskip(NEXT) | instid1(VALU_DEP_1)
	v_ashrrev_i32_e32 v7, 31, v6
	v_lshlrev_b64 v[7:8], 2, v[6:7]
	s_delay_alu instid0(VALU_DEP_1) | instskip(NEXT) | instid1(VALU_DEP_2)
	v_add_co_u32 v12, vcc_lo, s12, v7
	v_add_co_ci_u32_e32 v13, vcc_lo, s13, v8, vcc_lo
	global_load_b32 v30, v[12:13], off
	s_waitcnt vmcnt(4)
	v_mul_f32_e32 v27, v28, v34
	s_waitcnt vmcnt(2)
	v_fma_f32 v31, -v19, v16, v17
	v_add_nc_u32_e32 v16, s17, v6
	v_ashrrev_i32_e32 v19, 31, v18
	s_waitcnt vmcnt(1)
	s_delay_alu instid0(VALU_DEP_3) | instskip(SKIP_2) | instid1(VALU_DEP_3)
	v_div_scale_f32 v26, null, v9, v9, v31
	v_div_scale_f32 v33, vcc_lo, v31, v9, v31
	v_ashrrev_i32_e32 v17, 31, v16
	v_rcp_f32_e32 v32, v26
	s_delay_alu instid0(VALU_DEP_1) | instskip(SKIP_4) | instid1(VALU_DEP_1)
	v_lshlrev_b64 v[20:21], 2, v[16:17]
	v_lshlrev_b64 v[17:18], 2, v[18:19]
	s_waitcnt_depctr 0xfff
	v_fma_f32 v6, -v26, v32, 1.0
	v_add_co_u32 v19, s0, s12, v20
	v_add_co_ci_u32_e64 v20, s0, s13, v21, s0
	s_delay_alu instid0(VALU_DEP_3) | instskip(SKIP_1) | instid1(VALU_DEP_1)
	v_fmac_f32_e32 v32, v6, v32
	v_add_co_u32 v21, s0, s2, v17
	v_add_co_ci_u32_e64 v22, s0, s3, v18, s0
	s_delay_alu instid0(VALU_DEP_3) | instskip(NEXT) | instid1(VALU_DEP_1)
	v_mul_f32_e32 v6, v33, v32
	v_fma_f32 v23, -v26, v6, v33
	s_delay_alu instid0(VALU_DEP_1) | instskip(SKIP_1) | instid1(VALU_DEP_1)
	v_fmac_f32_e32 v6, v23, v32
	v_add_co_u32 v23, s0, s8, v17
	v_add_co_ci_u32_e64 v24, s0, s9, v18, s0
	s_delay_alu instid0(VALU_DEP_3)
	v_fma_f32 v26, -v26, v6, v33
	v_mul_f32_e32 v33, v29, v34
	s_sub_i32 s0, s4, s18
	global_load_b32 v23, v[23:24], off
	v_add_nc_u32_e32 v1, s0, v1
	v_div_fmas_f32 v6, v26, v32, v6
	v_add_co_u32 v25, vcc_lo, s10, v17
	v_add_co_ci_u32_e32 v26, vcc_lo, s11, v18, vcc_lo
	s_delay_alu instid0(VALU_DEP_3)
	v_div_fixup_f32 v6, v6, v9, v31
	global_load_b32 v9, v[19:20], off
	s_waitcnt vmcnt(2)
	v_fma_f32 v31, -v30, v28, v33
	v_add_co_u32 v17, vcc_lo, s6, v17
	global_store_b32 v[14:15], v6, off
	global_load_b32 v24, v[21:22], off
	v_add_co_ci_u32_e32 v18, vcc_lo, s7, v18, vcc_lo
	s_clause 0x1
	global_store_b32 v[4:5], v35, off
	global_store_b32 v[2:3], v31, off
	global_load_b32 v2, v[25:26], off
	global_load_b32 v3, v[10:11], off
	global_load_b32 v18, v[17:18], off
	v_fmac_f32_e32 v27, v30, v29
	s_cmp_lt_i32 s16, 5
	s_waitcnt vmcnt(3)
	v_fma_f32 v4, -v6, v23, v24
	s_waitcnt vmcnt(1)
	s_delay_alu instid0(VALU_DEP_1) | instskip(SKIP_1) | instid1(VALU_DEP_1)
	v_fma_f32 v25, -v2, v3, v4
	s_waitcnt vmcnt(0)
	v_div_scale_f32 v17, null, v18, v18, v25
	v_div_scale_f32 v24, vcc_lo, v25, v18, v25
	s_delay_alu instid0(VALU_DEP_2) | instskip(SKIP_1) | instid1(VALU_DEP_1)
	v_rcp_f32_e32 v23, v17
	v_mad_u64_u32 v[3:4], null, s17, -3, v[16:17]
	v_ashrrev_i32_e32 v4, 31, v3
	s_waitcnt_depctr 0xfff
	v_fma_f32 v2, -v17, v23, 1.0
	v_lshlrev_b64 v[3:4], 2, v[3:4]
	s_delay_alu instid0(VALU_DEP_2) | instskip(SKIP_1) | instid1(VALU_DEP_2)
	v_fmac_f32_e32 v23, v2, v23
	v_ashrrev_i32_e32 v2, 31, v1
	v_mul_f32_e32 v26, v24, v23
	s_delay_alu instid0(VALU_DEP_2) | instskip(NEXT) | instid1(VALU_DEP_2)
	v_lshlrev_b64 v[1:2], 2, v[1:2]
	v_fma_f32 v5, -v17, v26, v24
	s_delay_alu instid0(VALU_DEP_1) | instskip(NEXT) | instid1(VALU_DEP_3)
	v_fmac_f32_e32 v26, v5, v23
	v_add_co_u32 v5, s0, s2, v1
	s_delay_alu instid0(VALU_DEP_1) | instskip(NEXT) | instid1(VALU_DEP_3)
	v_add_co_ci_u32_e64 v6, s0, s3, v2, s0
	v_fma_f32 v24, -v17, v26, v24
	v_add_co_u32 v16, s0, s8, v1
	s_delay_alu instid0(VALU_DEP_1) | instskip(NEXT) | instid1(VALU_DEP_3)
	v_add_co_ci_u32_e64 v17, s0, s9, v2, s0
	v_div_fmas_f32 v26, v24, v23, v26
	v_add_co_u32 v23, vcc_lo, s10, v1
	v_add_co_ci_u32_e32 v24, vcc_lo, s11, v2, vcc_lo
	s_delay_alu instid0(VALU_DEP_3)
	v_div_fixup_f32 v18, v26, v18, v25
	global_load_b32 v16, v[16:17], off
	v_add_co_u32 v3, vcc_lo, s12, v3
	v_add_co_ci_u32_e32 v4, vcc_lo, s13, v4, vcc_lo
	global_store_b32 v[21:22], v18, off
	global_load_b32 v17, v[5:6], off
	global_load_b32 v21, v[23:24], off
	;; [unrolled: 1-line block ×3, first 2 shown]
	v_mul_f32_e32 v25, v29, v9
	v_add_co_u32 v1, vcc_lo, s6, v1
	v_add_co_ci_u32_e32 v2, vcc_lo, s7, v2, vcc_lo
	s_clause 0x1
	global_store_b32 v[12:13], v27, off
	global_store_b32 v[19:20], v25, off
	global_load_b32 v3, v[3:4], off
	global_load_b32 v4, v[10:11], off
	;; [unrolled: 1-line block ×3, first 2 shown]
	s_waitcnt vmcnt(5)
	v_fma_f32 v1, -v18, v16, v17
	s_waitcnt vmcnt(3)
	s_delay_alu instid0(VALU_DEP_1) | instskip(SKIP_1) | instid1(VALU_DEP_1)
	v_fma_f32 v1, -v21, v14, v1
	s_waitcnt vmcnt(1)
	v_fma_f32 v3, -v3, v4, v1
	s_waitcnt vmcnt(0)
	s_delay_alu instid0(VALU_DEP_1) | instskip(NEXT) | instid1(VALU_DEP_1)
	v_div_scale_f32 v1, null, v10, v10, v3
	v_rcp_f32_e32 v2, v1
	s_waitcnt_depctr 0xfff
	v_fma_f32 v4, -v1, v2, 1.0
	s_delay_alu instid0(VALU_DEP_1) | instskip(SKIP_1) | instid1(VALU_DEP_1)
	v_fmac_f32_e32 v2, v4, v2
	v_div_scale_f32 v4, vcc_lo, v3, v10, v3
	v_mul_f32_e32 v11, v4, v2
	s_delay_alu instid0(VALU_DEP_1) | instskip(NEXT) | instid1(VALU_DEP_1)
	v_fma_f32 v12, -v1, v11, v4
	v_fmac_f32_e32 v11, v12, v2
	s_delay_alu instid0(VALU_DEP_1) | instskip(SKIP_1) | instid1(VALU_DEP_2)
	v_fma_f32 v1, -v1, v11, v4
	v_mul_f32_e32 v4, v28, v9
	v_div_fmas_f32 v9, v1, v2, v11
	v_add_co_u32 v1, vcc_lo, s14, v7
	v_add_co_ci_u32_e32 v2, vcc_lo, s15, v8, vcc_lo
	s_delay_alu instid0(VALU_DEP_3)
	v_div_fixup_f32 v3, v9, v10, v3
	global_store_b32 v[1:2], v4, off
	global_store_b32 v[5:6], v3, off
	s_cbranch_scc1 .LBB2_7
; %bb.5:
	s_add_i32 s4, s16, -5
	s_add_i32 s0, s16, -4
	v_mad_u64_u32 v[1:2], null, s17, s4, v[0:1]
	s_add_i32 s5, s16, -3
	s_delay_alu instid0(VALU_DEP_1)
	v_mad_u64_u32 v[2:3], null, s18, s0, v[0:1]
	v_mad_u64_u32 v[3:4], null, s18, s5, v[0:1]
	;; [unrolled: 1-line block ×4, first 2 shown]
	v_add_nc_u32_e32 v0, s1, v0
.LBB2_6:                                ; =>This Inner Loop Header: Depth=1
	s_delay_alu instid0(VALU_DEP_2)
	v_add_nc_u32_e32 v6, s19, v5
	v_add_nc_u32_e32 v8, s19, v2
	;; [unrolled: 1-line block ×5, first 2 shown]
	v_ashrrev_i32_e32 v7, 31, v6
	v_ashrrev_i32_e32 v9, 31, v8
	;; [unrolled: 1-line block ×5, first 2 shown]
	v_lshlrev_b64 v[6:7], 2, v[6:7]
	v_lshlrev_b64 v[8:9], 2, v[8:9]
	;; [unrolled: 1-line block ×3, first 2 shown]
	v_add_nc_u32_e32 v16, s19, v0
	v_lshlrev_b64 v[12:13], 2, v[12:13]
	v_lshlrev_b64 v[14:15], 2, v[14:15]
	v_add_co_u32 v18, vcc_lo, s2, v6
	v_add_co_ci_u32_e32 v19, vcc_lo, s3, v7, vcc_lo
	v_add_co_u32 v20, vcc_lo, s8, v6
	v_add_co_ci_u32_e32 v21, vcc_lo, s9, v7, vcc_lo
	;; [unrolled: 2-line block ×4, first 2 shown]
	v_add_co_u32 v10, vcc_lo, s2, v10
	v_ashrrev_i32_e32 v17, 31, v16
	v_add_co_ci_u32_e32 v11, vcc_lo, s3, v11, vcc_lo
	v_add_co_u32 v24, vcc_lo, s12, v12
	v_add_co_ci_u32_e32 v25, vcc_lo, s13, v13, vcc_lo
	s_delay_alu instid0(VALU_DEP_4)
	v_lshlrev_b64 v[16:17], 2, v[16:17]
	v_add_co_u32 v14, vcc_lo, s2, v14
	global_load_b32 v26, v[18:19], off
	global_load_b32 v20, v[20:21], off
	;; [unrolled: 1-line block ×3, first 2 shown]
	v_add_co_ci_u32_e32 v15, vcc_lo, s3, v15, vcc_lo
	v_add_co_u32 v12, vcc_lo, s14, v12
	v_add_co_ci_u32_e32 v13, vcc_lo, s15, v13, vcc_lo
	v_add_co_u32 v8, vcc_lo, s2, v16
	global_load_b32 v16, v[22:23], off
	global_load_b32 v10, v[10:11], off
	v_add_co_ci_u32_e32 v9, vcc_lo, s3, v17, vcc_lo
	global_load_b32 v11, v[24:25], off
	global_load_b32 v14, v[14:15], off
	v_add_co_u32 v6, vcc_lo, s6, v6
	v_add_co_ci_u32_e32 v7, vcc_lo, s7, v7, vcc_lo
	global_load_b32 v12, v[12:13], off
	global_load_b32 v8, v[8:9], off
	;; [unrolled: 1-line block ×3, first 2 shown]
	v_subrev_nc_u32_e32 v1, s17, v1
	v_subrev_nc_u32_e32 v2, s18, v2
	;; [unrolled: 1-line block ×6, first 2 shown]
	s_add_i32 s0, s0, -1
	s_delay_alu instid0(SALU_CYCLE_1) | instskip(SKIP_3) | instid1(VALU_DEP_1)
	s_cmp_lg_u32 s0, 0
	s_waitcnt vmcnt(7)
	v_fma_f32 v7, -v20, v21, v26
	s_waitcnt vmcnt(5)
	v_fma_f32 v7, -v16, v10, v7
	s_waitcnt vmcnt(3)
	s_delay_alu instid0(VALU_DEP_1) | instskip(SKIP_1) | instid1(VALU_DEP_1)
	v_fma_f32 v7, -v11, v14, v7
	s_waitcnt vmcnt(1)
	v_fma_f32 v7, -v12, v8, v7
	s_waitcnt vmcnt(0)
	s_delay_alu instid0(VALU_DEP_1) | instskip(SKIP_1) | instid1(VALU_DEP_2)
	v_div_scale_f32 v8, null, v6, v6, v7
	v_div_scale_f32 v11, vcc_lo, v7, v6, v7
	v_rcp_f32_e32 v9, v8
	s_waitcnt_depctr 0xfff
	v_fma_f32 v10, -v8, v9, 1.0
	s_delay_alu instid0(VALU_DEP_1) | instskip(NEXT) | instid1(VALU_DEP_1)
	v_fmac_f32_e32 v9, v10, v9
	v_mul_f32_e32 v10, v11, v9
	s_delay_alu instid0(VALU_DEP_1) | instskip(NEXT) | instid1(VALU_DEP_1)
	v_fma_f32 v12, -v8, v10, v11
	v_fmac_f32_e32 v10, v12, v9
	s_delay_alu instid0(VALU_DEP_1) | instskip(NEXT) | instid1(VALU_DEP_1)
	v_fma_f32 v8, -v8, v10, v11
	v_div_fmas_f32 v8, v8, v9, v10
	s_delay_alu instid0(VALU_DEP_1)
	v_div_fixup_f32 v6, v8, v6, v7
	global_store_b32 v[18:19], v6, off
	s_cbranch_scc1 .LBB2_6
.LBB2_7:
	s_nop 0
	s_sendmsg sendmsg(MSG_DEALLOC_VGPRS)
	s_endpgm
	.section	.rodata,"a",@progbits
	.p2align	6, 0x0
	.amdhsa_kernel _ZN9rocsparseL39gpsv_interleaved_batch_givens_qr_kernelILj128EfEEviiiPT0_S2_S2_S2_S2_S2_S2_S2_
		.amdhsa_group_segment_fixed_size 0
		.amdhsa_private_segment_fixed_size 0
		.amdhsa_kernarg_size 80
		.amdhsa_user_sgpr_count 15
		.amdhsa_user_sgpr_dispatch_ptr 0
		.amdhsa_user_sgpr_queue_ptr 0
		.amdhsa_user_sgpr_kernarg_segment_ptr 1
		.amdhsa_user_sgpr_dispatch_id 0
		.amdhsa_user_sgpr_private_segment_size 0
		.amdhsa_wavefront_size32 1
		.amdhsa_uses_dynamic_stack 0
		.amdhsa_enable_private_segment 0
		.amdhsa_system_sgpr_workgroup_id_x 1
		.amdhsa_system_sgpr_workgroup_id_y 0
		.amdhsa_system_sgpr_workgroup_id_z 0
		.amdhsa_system_sgpr_workgroup_info 0
		.amdhsa_system_vgpr_workitem_id 0
		.amdhsa_next_free_vgpr 54
		.amdhsa_next_free_sgpr 24
		.amdhsa_reserve_vcc 1
		.amdhsa_float_round_mode_32 0
		.amdhsa_float_round_mode_16_64 0
		.amdhsa_float_denorm_mode_32 3
		.amdhsa_float_denorm_mode_16_64 3
		.amdhsa_dx10_clamp 1
		.amdhsa_ieee_mode 1
		.amdhsa_fp16_overflow 0
		.amdhsa_workgroup_processor_mode 1
		.amdhsa_memory_ordered 1
		.amdhsa_forward_progress 0
		.amdhsa_shared_vgpr_count 0
		.amdhsa_exception_fp_ieee_invalid_op 0
		.amdhsa_exception_fp_denorm_src 0
		.amdhsa_exception_fp_ieee_div_zero 0
		.amdhsa_exception_fp_ieee_overflow 0
		.amdhsa_exception_fp_ieee_underflow 0
		.amdhsa_exception_fp_ieee_inexact 0
		.amdhsa_exception_int_div_zero 0
	.end_amdhsa_kernel
	.section	.text._ZN9rocsparseL39gpsv_interleaved_batch_givens_qr_kernelILj128EfEEviiiPT0_S2_S2_S2_S2_S2_S2_S2_,"axG",@progbits,_ZN9rocsparseL39gpsv_interleaved_batch_givens_qr_kernelILj128EfEEviiiPT0_S2_S2_S2_S2_S2_S2_S2_,comdat
.Lfunc_end2:
	.size	_ZN9rocsparseL39gpsv_interleaved_batch_givens_qr_kernelILj128EfEEviiiPT0_S2_S2_S2_S2_S2_S2_S2_, .Lfunc_end2-_ZN9rocsparseL39gpsv_interleaved_batch_givens_qr_kernelILj128EfEEviiiPT0_S2_S2_S2_S2_S2_S2_S2_
                                        ; -- End function
	.section	.AMDGPU.csdata,"",@progbits
; Kernel info:
; codeLenInByte = 4064
; NumSgprs: 26
; NumVgprs: 54
; ScratchSize: 0
; MemoryBound: 0
; FloatMode: 240
; IeeeMode: 1
; LDSByteSize: 0 bytes/workgroup (compile time only)
; SGPRBlocks: 3
; VGPRBlocks: 6
; NumSGPRsForWavesPerEU: 26
; NumVGPRsForWavesPerEU: 54
; Occupancy: 16
; WaveLimiterHint : 0
; COMPUTE_PGM_RSRC2:SCRATCH_EN: 0
; COMPUTE_PGM_RSRC2:USER_SGPR: 15
; COMPUTE_PGM_RSRC2:TRAP_HANDLER: 0
; COMPUTE_PGM_RSRC2:TGID_X_EN: 1
; COMPUTE_PGM_RSRC2:TGID_Y_EN: 0
; COMPUTE_PGM_RSRC2:TGID_Z_EN: 0
; COMPUTE_PGM_RSRC2:TIDIG_COMP_CNT: 0
	.section	.text._ZN9rocsparseL19gpsv_strided_gatherILj256EdEEviiiPKT0_PS1_,"axG",@progbits,_ZN9rocsparseL19gpsv_strided_gatherILj256EdEEviiiPKT0_PS1_,comdat
	.globl	_ZN9rocsparseL19gpsv_strided_gatherILj256EdEEviiiPKT0_PS1_ ; -- Begin function _ZN9rocsparseL19gpsv_strided_gatherILj256EdEEviiiPKT0_PS1_
	.p2align	8
	.type	_ZN9rocsparseL19gpsv_strided_gatherILj256EdEEviiiPKT0_PS1_,@function
_ZN9rocsparseL19gpsv_strided_gatherILj256EdEEviiiPKT0_PS1_: ; @_ZN9rocsparseL19gpsv_strided_gatherILj256EdEEviiiPKT0_PS1_
; %bb.0:
	s_clause 0x1
	s_load_b32 s2, s[0:1], 0x2c
	s_load_b128 s[4:7], s[0:1], 0x0
	s_waitcnt lgkmcnt(0)
	s_and_b32 s2, s2, 0xffff
	s_cmp_gt_i32 s4, 0
	v_mad_u64_u32 v[1:2], null, s15, s2, v[0:1]
	s_cselect_b32 s2, -1, 0
	s_delay_alu instid0(VALU_DEP_1) | instskip(SKIP_1) | instid1(SALU_CYCLE_1)
	v_cmp_gt_i32_e32 vcc_lo, s5, v1
	s_and_b32 s2, vcc_lo, s2
	s_and_saveexec_b32 s3, s2
	s_cbranch_execz .LBB3_3
; %bb.1:
	s_load_b128 s[0:3], s[0:1], 0x10
	v_mov_b32_e32 v3, v1
	.p2align	6
.LBB3_2:                                ; =>This Inner Loop Header: Depth=1
	v_ashrrev_i32_e32 v2, 31, v1
	s_add_i32 s4, s4, -1
	s_delay_alu instid0(SALU_CYCLE_1) | instskip(NEXT) | instid1(VALU_DEP_1)
	s_cmp_lg_u32 s4, 0
	v_lshlrev_b64 v[4:5], 3, v[1:2]
	v_add_nc_u32_e32 v1, s6, v1
	s_waitcnt lgkmcnt(0)
	s_delay_alu instid0(VALU_DEP_2) | instskip(NEXT) | instid1(VALU_DEP_3)
	v_add_co_u32 v4, vcc_lo, s0, v4
	v_add_co_ci_u32_e32 v5, vcc_lo, s1, v5, vcc_lo
	global_load_b64 v[5:6], v[4:5], off
	v_ashrrev_i32_e32 v4, 31, v3
	s_delay_alu instid0(VALU_DEP_1) | instskip(SKIP_1) | instid1(VALU_DEP_2)
	v_lshlrev_b64 v[7:8], 3, v[3:4]
	v_add_nc_u32_e32 v3, s5, v3
	v_add_co_u32 v7, vcc_lo, s2, v7
	s_delay_alu instid0(VALU_DEP_3)
	v_add_co_ci_u32_e32 v8, vcc_lo, s3, v8, vcc_lo
	s_waitcnt vmcnt(0)
	global_store_b64 v[7:8], v[5:6], off
	s_cbranch_scc1 .LBB3_2
.LBB3_3:
	s_nop 0
	s_sendmsg sendmsg(MSG_DEALLOC_VGPRS)
	s_endpgm
	.section	.rodata,"a",@progbits
	.p2align	6, 0x0
	.amdhsa_kernel _ZN9rocsparseL19gpsv_strided_gatherILj256EdEEviiiPKT0_PS1_
		.amdhsa_group_segment_fixed_size 0
		.amdhsa_private_segment_fixed_size 0
		.amdhsa_kernarg_size 288
		.amdhsa_user_sgpr_count 15
		.amdhsa_user_sgpr_dispatch_ptr 0
		.amdhsa_user_sgpr_queue_ptr 0
		.amdhsa_user_sgpr_kernarg_segment_ptr 1
		.amdhsa_user_sgpr_dispatch_id 0
		.amdhsa_user_sgpr_private_segment_size 0
		.amdhsa_wavefront_size32 1
		.amdhsa_uses_dynamic_stack 0
		.amdhsa_enable_private_segment 0
		.amdhsa_system_sgpr_workgroup_id_x 1
		.amdhsa_system_sgpr_workgroup_id_y 0
		.amdhsa_system_sgpr_workgroup_id_z 0
		.amdhsa_system_sgpr_workgroup_info 0
		.amdhsa_system_vgpr_workitem_id 0
		.amdhsa_next_free_vgpr 9
		.amdhsa_next_free_sgpr 16
		.amdhsa_reserve_vcc 1
		.amdhsa_float_round_mode_32 0
		.amdhsa_float_round_mode_16_64 0
		.amdhsa_float_denorm_mode_32 3
		.amdhsa_float_denorm_mode_16_64 3
		.amdhsa_dx10_clamp 1
		.amdhsa_ieee_mode 1
		.amdhsa_fp16_overflow 0
		.amdhsa_workgroup_processor_mode 1
		.amdhsa_memory_ordered 1
		.amdhsa_forward_progress 0
		.amdhsa_shared_vgpr_count 0
		.amdhsa_exception_fp_ieee_invalid_op 0
		.amdhsa_exception_fp_denorm_src 0
		.amdhsa_exception_fp_ieee_div_zero 0
		.amdhsa_exception_fp_ieee_overflow 0
		.amdhsa_exception_fp_ieee_underflow 0
		.amdhsa_exception_fp_ieee_inexact 0
		.amdhsa_exception_int_div_zero 0
	.end_amdhsa_kernel
	.section	.text._ZN9rocsparseL19gpsv_strided_gatherILj256EdEEviiiPKT0_PS1_,"axG",@progbits,_ZN9rocsparseL19gpsv_strided_gatherILj256EdEEviiiPKT0_PS1_,comdat
.Lfunc_end3:
	.size	_ZN9rocsparseL19gpsv_strided_gatherILj256EdEEviiiPKT0_PS1_, .Lfunc_end3-_ZN9rocsparseL19gpsv_strided_gatherILj256EdEEviiiPKT0_PS1_
                                        ; -- End function
	.section	.AMDGPU.csdata,"",@progbits
; Kernel info:
; codeLenInByte = 200
; NumSgprs: 18
; NumVgprs: 9
; ScratchSize: 0
; MemoryBound: 0
; FloatMode: 240
; IeeeMode: 1
; LDSByteSize: 0 bytes/workgroup (compile time only)
; SGPRBlocks: 2
; VGPRBlocks: 1
; NumSGPRsForWavesPerEU: 18
; NumVGPRsForWavesPerEU: 9
; Occupancy: 16
; WaveLimiterHint : 0
; COMPUTE_PGM_RSRC2:SCRATCH_EN: 0
; COMPUTE_PGM_RSRC2:USER_SGPR: 15
; COMPUTE_PGM_RSRC2:TRAP_HANDLER: 0
; COMPUTE_PGM_RSRC2:TGID_X_EN: 1
; COMPUTE_PGM_RSRC2:TGID_Y_EN: 0
; COMPUTE_PGM_RSRC2:TGID_Z_EN: 0
; COMPUTE_PGM_RSRC2:TIDIG_COMP_CNT: 0
	.section	.text._ZN9rocsparseL44gpsv_interleaved_batch_householder_qr_kernelILj256EdEEviiiPT0_S2_S2_S2_S2_S2_S2_S2_S2_,"axG",@progbits,_ZN9rocsparseL44gpsv_interleaved_batch_householder_qr_kernelILj256EdEEviiiPT0_S2_S2_S2_S2_S2_S2_S2_S2_,comdat
	.globl	_ZN9rocsparseL44gpsv_interleaved_batch_householder_qr_kernelILj256EdEEviiiPT0_S2_S2_S2_S2_S2_S2_S2_S2_ ; -- Begin function _ZN9rocsparseL44gpsv_interleaved_batch_householder_qr_kernelILj256EdEEviiiPT0_S2_S2_S2_S2_S2_S2_S2_S2_
	.p2align	8
	.type	_ZN9rocsparseL44gpsv_interleaved_batch_householder_qr_kernelILj256EdEEviiiPT0_S2_S2_S2_S2_S2_S2_S2_S2_,@function
_ZN9rocsparseL44gpsv_interleaved_batch_householder_qr_kernelILj256EdEEviiiPT0_S2_S2_S2_S2_S2_S2_S2_S2_: ; @_ZN9rocsparseL44gpsv_interleaved_batch_householder_qr_kernelILj256EdEEviiiPT0_S2_S2_S2_S2_S2_S2_S2_S2_
; %bb.0:
	s_clause 0x1
	s_load_b32 s2, s[0:1], 0x64
	s_load_b128 s[4:7], s[0:1], 0x0
	s_waitcnt lgkmcnt(0)
	s_and_b32 s2, s2, 0xffff
	s_delay_alu instid0(SALU_CYCLE_1) | instskip(SKIP_2) | instid1(VALU_DEP_1)
	s_mul_i32 s7, s15, s2
	s_mov_b32 s2, exec_lo
	v_add_nc_u32_e32 v1, s7, v0
	v_cmpx_gt_i32_e64 s5, v1
	s_cbranch_execz .LBB4_26
; %bb.1:
	s_clause 0x3
	s_load_b64 s[20:21], s[0:1], 0x50
	s_load_b128 s[8:11], s[0:1], 0x40
	s_load_b128 s[12:15], s[0:1], 0x20
	s_load_b64 s[22:23], s[0:1], 0x30
	s_add_i32 s24, s4, -1
	s_cmp_lt_i32 s4, 2
	s_cbranch_scc1 .LBB4_13
; %bb.2:
	s_load_b128 s[16:19], s[0:1], 0x10
	v_dual_mov_b32 v56, v0 :: v_dual_add_nc_u32 v51, s5, v0
	v_lshl_add_u32 v52, s5, 1, v0
	v_add_nc_u32_e32 v53, s6, v0
	v_lshl_add_u32 v54, s6, 1, v0
	v_mov_b32_e32 v55, v0
	s_mov_b32 s25, s24
	s_branch .LBB4_4
.LBB4_3:                                ;   in Loop: Header=BB4_4 Depth=1
	s_or_b32 exec_lo, exec_lo, s27
	v_add_nc_u32_e32 v51, s5, v51
	v_add_nc_u32_e32 v52, s5, v52
	;; [unrolled: 1-line block ×6, first 2 shown]
	s_add_i32 s25, s25, -1
	s_delay_alu instid0(SALU_CYCLE_1)
	s_cmp_eq_u32 s25, 0
	s_cbranch_scc1 .LBB4_13
.LBB4_4:                                ; =>This Inner Loop Header: Depth=1
	v_add_nc_u32_e32 v1, s7, v53
	s_waitcnt vmcnt(0)
	v_mov_b32_e32 v23, 0
	v_dual_mov_b32 v24, 0 :: v_dual_add_nc_u32 v3, s7, v51
	s_cmp_lg_u32 s25, 1
	v_ashrrev_i32_e32 v2, 31, v1
	s_cselect_b32 s26, -1, 0
	s_delay_alu instid0(VALU_DEP_2) | instskip(SKIP_4) | instid1(VALU_DEP_4)
	v_mov_b32_e32 v26, v24
	v_ashrrev_i32_e32 v4, 31, v3
	v_dual_mov_b32 v25, v23 :: v_dual_mov_b32 v34, v24
	v_lshlrev_b64 v[1:2], 3, v[1:2]
	v_mov_b32_e32 v30, v24
	v_lshlrev_b64 v[37:38], 3, v[3:4]
	v_add_nc_u32_e32 v3, s7, v54
	v_dual_mov_b32 v29, v23 :: v_dual_mov_b32 v36, v24
	s_waitcnt lgkmcnt(0)
	v_add_co_u32 v5, vcc_lo, s18, v1
	v_add_co_ci_u32_e32 v6, vcc_lo, s19, v2, vcc_lo
	v_add_co_u32 v7, vcc_lo, s12, v1
	v_add_co_ci_u32_e32 v8, vcc_lo, s13, v2, vcc_lo
	;; [unrolled: 2-line block ×5, first 2 shown]
	global_load_b64 v[27:28], v[5:6], off
	global_load_b64 v[15:16], v[7:8], off
	;; [unrolled: 1-line block ×5, first 2 shown]
	v_dual_mov_b32 v32, v24 :: v_dual_add_nc_u32 v1, s7, v52
	v_mov_b32_e32 v31, v23
	v_mov_b32_e32 v33, v23
	;; [unrolled: 1-line block ×3, first 2 shown]
	s_cmp_eq_u32 s25, 1
	s_cbranch_scc1 .LBB4_6
; %bb.5:                                ;   in Loop: Header=BB4_4 Depth=1
	v_ashrrev_i32_e32 v4, 31, v3
	v_ashrrev_i32_e32 v2, 31, v1
	s_delay_alu instid0(VALU_DEP_2) | instskip(NEXT) | instid1(VALU_DEP_2)
	v_lshlrev_b64 v[23:24], 3, v[3:4]
	v_lshlrev_b64 v[33:34], 3, v[1:2]
	s_delay_alu instid0(VALU_DEP_2) | instskip(NEXT) | instid1(VALU_DEP_3)
	v_add_co_u32 v25, vcc_lo, s16, v23
	v_add_co_ci_u32_e32 v26, vcc_lo, s17, v24, vcc_lo
	v_add_co_u32 v29, vcc_lo, s18, v23
	v_add_co_ci_u32_e32 v30, vcc_lo, s19, v24, vcc_lo
	;; [unrolled: 2-line block ×3, first 2 shown]
	global_load_b64 v[35:36], v[25:26], off
	v_add_co_u32 v25, vcc_lo, s14, v23
	v_add_co_ci_u32_e32 v26, vcc_lo, s15, v24, vcc_lo
	v_add_co_u32 v23, vcc_lo, s22, v23
	v_add_co_ci_u32_e32 v24, vcc_lo, s23, v24, vcc_lo
	;; [unrolled: 2-line block ×3, first 2 shown]
	global_load_b64 v[33:34], v[29:30], off
	global_load_b64 v[31:32], v[31:32], off
	;; [unrolled: 1-line block ×5, first 2 shown]
.LBB4_6:                                ;   in Loop: Header=BB4_4 Depth=1
	s_waitcnt vmcnt(5)
	s_delay_alu instid0(VALU_DEP_1) | instskip(SKIP_2) | instid1(VALU_DEP_1)
	v_mul_f64 v[39:40], v[35:36], v[35:36]
	s_mov_b32 s27, exec_lo
	s_waitcnt vmcnt(4)
	v_fma_f64 v[47:48], v[27:28], v[27:28], v[39:40]
	s_delay_alu instid0(VALU_DEP_1)
	v_cmpx_neq_f64_e32 0, v[47:48]
	s_cbranch_execz .LBB4_3
; %bb.7:                                ;   in Loop: Header=BB4_4 Depth=1
	v_add_nc_u32_e32 v39, s7, v55
	s_delay_alu instid0(VALU_DEP_1) | instskip(NEXT) | instid1(VALU_DEP_1)
	v_ashrrev_i32_e32 v40, 31, v39
	v_lshlrev_b64 v[43:44], 3, v[39:40]
	s_delay_alu instid0(VALU_DEP_1) | instskip(NEXT) | instid1(VALU_DEP_2)
	v_add_co_u32 v39, vcc_lo, s12, v43
	v_add_co_ci_u32_e32 v40, vcc_lo, s13, v44, vcc_lo
	global_load_b64 v[41:42], v[39:40], off
	s_waitcnt vmcnt(0)
	v_fma_f64 v[45:46], v[41:42], v[41:42], v[47:48]
	v_cmp_nlt_f64_e64 s2, 0, v[41:42]
	s_delay_alu instid0(VALU_DEP_2) | instskip(SKIP_1) | instid1(VALU_DEP_1)
	v_cmp_gt_f64_e32 vcc_lo, 0x10000000, v[45:46]
	v_cndmask_b32_e64 v2, 0, 1, vcc_lo
	v_lshlrev_b32_e32 v2, 8, v2
	s_delay_alu instid0(VALU_DEP_1) | instskip(SKIP_1) | instid1(VALU_DEP_2)
	v_ldexp_f64 v[45:46], v[45:46], v2
	v_cndmask_b32_e64 v2, 0, 0xffffff80, vcc_lo
	v_rsq_f64_e32 v[49:50], v[45:46]
	v_cmp_class_f64_e64 vcc_lo, v[45:46], 0x260
	s_waitcnt_depctr 0xfff
	v_mul_f64 v[57:58], v[45:46], v[49:50]
	v_mul_f64 v[49:50], v[49:50], 0.5
	s_delay_alu instid0(VALU_DEP_1) | instskip(NEXT) | instid1(VALU_DEP_1)
	v_fma_f64 v[59:60], -v[49:50], v[57:58], 0.5
	v_fma_f64 v[57:58], v[57:58], v[59:60], v[57:58]
	v_fma_f64 v[49:50], v[49:50], v[59:60], v[49:50]
	s_delay_alu instid0(VALU_DEP_2) | instskip(NEXT) | instid1(VALU_DEP_1)
	v_fma_f64 v[59:60], -v[57:58], v[57:58], v[45:46]
	v_fma_f64 v[57:58], v[59:60], v[49:50], v[57:58]
	s_delay_alu instid0(VALU_DEP_1) | instskip(NEXT) | instid1(VALU_DEP_1)
	v_fma_f64 v[59:60], -v[57:58], v[57:58], v[45:46]
	v_fma_f64 v[49:50], v[59:60], v[49:50], v[57:58]
	s_delay_alu instid0(VALU_DEP_1) | instskip(NEXT) | instid1(VALU_DEP_1)
	v_ldexp_f64 v[49:50], v[49:50], v2
	v_dual_cndmask_b32 v49, v49, v45 :: v_dual_cndmask_b32 v50, v50, v46
                                        ; implicit-def: $vgpr45_vgpr46
	s_and_saveexec_b32 s3, s2
	s_delay_alu instid0(SALU_CYCLE_1)
	s_xor_b32 s2, exec_lo, s3
; %bb.8:                                ;   in Loop: Header=BB4_4 Depth=1
	s_delay_alu instid0(VALU_DEP_1)
	v_add_f64 v[45:46], v[41:42], -v[49:50]
                                        ; implicit-def: $vgpr49_vgpr50
; %bb.9:                                ;   in Loop: Header=BB4_4 Depth=1
	s_and_not1_saveexec_b32 s2, s2
; %bb.10:                               ;   in Loop: Header=BB4_4 Depth=1
	v_add_f64 v[45:46], v[41:42], v[49:50]
; %bb.11:                               ;   in Loop: Header=BB4_4 Depth=1
	s_or_b32 exec_lo, exec_lo, s2
	s_delay_alu instid0(VALU_DEP_1)
	v_div_scale_f64 v[49:50], null, v[45:46], v[45:46], v[27:28]
	v_div_scale_f64 v[57:58], null, v[45:46], v[45:46], v[35:36]
	v_mul_f64 v[61:62], v[45:46], v[45:46]
	v_fma_f64 v[47:48], v[45:46], v[45:46], v[47:48]
	v_add_nc_u32_e32 v67, s7, v56
	v_div_scale_f64 v[81:82], s2, v[35:36], v[45:46], v[35:36]
	s_delay_alu instid0(VALU_DEP_2) | instskip(NEXT) | instid1(VALU_DEP_1)
	v_ashrrev_i32_e32 v68, 31, v67
	v_lshlrev_b64 v[67:68], 3, v[67:68]
	v_rcp_f64_e32 v[59:60], v[49:50]
	v_rcp_f64_e32 v[63:64], v[57:58]
	v_add_f64 v[61:62], v[61:62], v[61:62]
	s_waitcnt_depctr 0xfff
	v_fma_f64 v[65:66], -v[49:50], v[59:60], 1.0
	v_fma_f64 v[69:70], -v[57:58], v[63:64], 1.0
	v_div_scale_f64 v[73:74], null, v[47:48], v[47:48], v[61:62]
	s_delay_alu instid0(VALU_DEP_3)
	v_fma_f64 v[59:60], v[59:60], v[65:66], v[59:60]
	v_add_co_u32 v65, vcc_lo, s8, v67
	v_add_co_ci_u32_e32 v66, vcc_lo, s9, v68, vcc_lo
	v_fma_f64 v[63:64], v[63:64], v[69:70], v[63:64]
	v_rcp_f64_e32 v[75:76], v[73:74]
	v_div_scale_f64 v[79:80], vcc_lo, v[27:28], v[45:46], v[27:28]
	global_load_b64 v[71:72], v[65:66], off
	v_fma_f64 v[69:70], -v[49:50], v[59:60], 1.0
	v_fma_f64 v[77:78], -v[57:58], v[63:64], 1.0
	s_delay_alu instid0(VALU_DEP_2) | instskip(SKIP_1) | instid1(VALU_DEP_3)
	v_fma_f64 v[59:60], v[59:60], v[69:70], v[59:60]
	v_fma_f64 v[69:70], -v[73:74], v[75:76], 1.0
	v_fma_f64 v[63:64], v[63:64], v[77:78], v[63:64]
	s_delay_alu instid0(VALU_DEP_3) | instskip(NEXT) | instid1(VALU_DEP_3)
	v_mul_f64 v[77:78], v[79:80], v[59:60]
	v_fma_f64 v[69:70], v[75:76], v[69:70], v[75:76]
	s_delay_alu instid0(VALU_DEP_3) | instskip(NEXT) | instid1(VALU_DEP_3)
	v_mul_f64 v[75:76], v[81:82], v[63:64]
	v_fma_f64 v[49:50], -v[49:50], v[77:78], v[79:80]
	s_delay_alu instid0(VALU_DEP_3) | instskip(NEXT) | instid1(VALU_DEP_3)
	v_fma_f64 v[79:80], -v[73:74], v[69:70], 1.0
	v_fma_f64 v[57:58], -v[57:58], v[75:76], v[81:82]
	s_delay_alu instid0(VALU_DEP_3) | instskip(SKIP_1) | instid1(VALU_DEP_4)
	v_div_fmas_f64 v[49:50], v[49:50], v[59:60], v[77:78]
	v_div_scale_f64 v[59:60], s3, v[61:62], v[47:48], v[61:62]
	v_fma_f64 v[69:70], v[69:70], v[79:80], v[69:70]
	s_mov_b32 vcc_lo, s2
	s_delay_alu instid0(VALU_DEP_4) | instskip(NEXT) | instid1(VALU_DEP_4)
	v_div_fmas_f64 v[57:58], v[57:58], v[63:64], v[75:76]
	v_div_fixup_f64 v[49:50], v[49:50], v[45:46], v[27:28]
	s_delay_alu instid0(VALU_DEP_3) | instskip(NEXT) | instid1(VALU_DEP_3)
	v_mul_f64 v[63:64], v[59:60], v[69:70]
	v_div_fixup_f64 v[45:46], v[57:58], v[45:46], v[35:36]
	s_delay_alu instid0(VALU_DEP_3) | instskip(SKIP_1) | instid1(VALU_DEP_4)
	v_fma_f64 v[57:58], v[49:50], v[49:50], 1.0
	v_fma_f64 v[27:28], v[49:50], v[27:28], v[41:42]
	v_fma_f64 v[59:60], -v[73:74], v[63:64], v[59:60]
	v_add_co_u32 v73, vcc_lo, s14, v43
	v_add_co_ci_u32_e32 v74, vcc_lo, s15, v44, vcc_lo
	v_add_co_u32 v75, vcc_lo, s22, v43
	v_add_co_ci_u32_e32 v76, vcc_lo, s23, v44, vcc_lo
	;; [unrolled: 2-line block ×5, first 2 shown]
	s_mov_b32 vcc_lo, s3
	global_load_b64 v[79:80], v[73:74], off
	global_load_b64 v[81:82], v[75:76], off
	;; [unrolled: 1-line block ×4, first 2 shown]
	v_fma_f64 v[57:58], v[45:46], v[45:46], v[57:58]
	v_fma_f64 v[91:92], v[45:46], v[35:36], v[27:28]
	v_div_fmas_f64 v[43:44], v[59:60], v[69:70], v[63:64]
	global_load_b64 v[63:64], v[67:68], off
	s_waitcnt vmcnt(5)
	v_fma_f64 v[59:60], v[49:50], v[19:20], v[71:72]
	v_div_scale_f64 v[69:70], null, v[57:58], v[57:58], 2.0
	v_div_fixup_f64 v[61:62], v[43:44], v[47:48], v[61:62]
	s_delay_alu instid0(VALU_DEP_3) | instskip(NEXT) | instid1(VALU_DEP_3)
	v_fma_f64 v[59:60], v[45:46], v[29:30], v[59:60]
	v_rcp_f64_e32 v[43:44], v[69:70]
	s_delay_alu instid0(VALU_DEP_2) | instskip(NEXT) | instid1(VALU_DEP_2)
	v_fma_f64 v[41:42], -v[91:92], v[61:62], v[41:42]
	v_fma_f64 v[47:48], -v[61:62], v[59:60], v[71:72]
	s_waitcnt_depctr 0xfff
	v_fma_f64 v[71:72], -v[69:70], v[43:44], 1.0
	global_store_b64 v[65:66], v[47:48], off
	global_load_b64 v[65:66], v[77:78], off
	v_fma_f64 v[43:44], v[43:44], v[71:72], v[43:44]
	v_div_scale_f64 v[71:72], vcc_lo, 2.0, v[57:58], 2.0
	s_delay_alu instid0(VALU_DEP_2) | instskip(NEXT) | instid1(VALU_DEP_1)
	v_fma_f64 v[47:48], -v[69:70], v[43:44], 1.0
	v_fma_f64 v[43:44], v[43:44], v[47:48], v[43:44]
	s_delay_alu instid0(VALU_DEP_1) | instskip(NEXT) | instid1(VALU_DEP_1)
	v_mul_f64 v[47:48], v[71:72], v[43:44]
	v_fma_f64 v[69:70], -v[69:70], v[47:48], v[71:72]
	s_waitcnt vmcnt(5)
	v_fma_f64 v[71:72], v[49:50], v[15:16], v[79:80]
	s_waitcnt vmcnt(4)
	v_fma_f64 v[87:88], v[49:50], v[17:18], v[81:82]
	;; [unrolled: 2-line block ×3, first 2 shown]
	s_delay_alu instid0(VALU_DEP_4)
	v_div_fmas_f64 v[43:44], v[69:70], v[43:44], v[47:48]
	s_waitcnt vmcnt(1)
	v_fma_f64 v[47:48], v[49:50], v[21:22], v[63:64]
	v_fma_f64 v[69:70], v[45:46], v[33:34], v[71:72]
	;; [unrolled: 1-line block ×4, first 2 shown]
	v_mul_f64 v[37:38], v[61:62], v[59:60]
	s_and_not1_b32 vcc_lo, exec_lo, s26
	v_div_fixup_f64 v[57:58], v[43:44], v[57:58], 2.0
	v_fma_f64 v[89:90], v[45:46], v[23:24], v[47:48]
	v_mul_f64 v[47:48], v[69:70], v[61:62]
	v_mul_f64 v[43:44], v[61:62], v[71:72]
	;; [unrolled: 1-line block ×3, first 2 shown]
	v_fma_f64 v[59:60], -v[69:70], v[61:62], v[79:80]
	v_fma_f64 v[69:70], -v[61:62], v[71:72], v[81:82]
	;; [unrolled: 1-line block ×4, first 2 shown]
	v_mul_f64 v[27:28], v[57:58], v[89:90]
	v_fma_f64 v[57:58], -v[57:58], v[89:90], v[63:64]
	v_fma_f64 v[15:16], -v[47:48], v[49:50], v[15:16]
	;; [unrolled: 1-line block ×3, first 2 shown]
	global_store_b64 v[39:40], v[41:42], off
	global_store_b64 v[73:74], v[59:60], off
	;; [unrolled: 1-line block ×9, first 2 shown]
	v_fma_f64 v[21:22], -v[49:50], v[27:28], v[21:22]
	s_waitcnt vmcnt(0)
	v_fma_f64 v[63:64], -v[35:36], v[49:50], v[65:66]
	global_store_b64 v[77:78], v[63:64], off
	global_store_b64 v[11:12], v[21:22], off
	s_cbranch_vccnz .LBB4_3
; %bb.12:                               ;   in Loop: Header=BB4_4 Depth=1
	v_fma_f64 v[5:6], -v[47:48], v[45:46], v[33:34]
	v_fma_f64 v[7:8], -v[43:44], v[45:46], v[31:32]
	;; [unrolled: 1-line block ×5, first 2 shown]
	v_ashrrev_i32_e32 v4, 31, v3
	v_ashrrev_i32_e32 v2, 31, v1
	s_delay_alu instid0(VALU_DEP_2) | instskip(NEXT) | instid1(VALU_DEP_2)
	v_lshlrev_b64 v[3:4], 3, v[3:4]
	v_lshlrev_b64 v[1:2], 3, v[1:2]
	s_delay_alu instid0(VALU_DEP_2) | instskip(NEXT) | instid1(VALU_DEP_3)
	v_add_co_u32 v15, vcc_lo, s16, v3
	v_add_co_ci_u32_e32 v16, vcc_lo, s17, v4, vcc_lo
	v_add_co_u32 v17, vcc_lo, s18, v3
	v_add_co_ci_u32_e32 v18, vcc_lo, s19, v4, vcc_lo
	;; [unrolled: 2-line block ×6, first 2 shown]
	global_store_b64 v[15:16], v[45:46], off
	global_store_b64 v[17:18], v[5:6], off
	;; [unrolled: 1-line block ×6, first 2 shown]
	s_branch .LBB4_3
.LBB4_13:
	s_cmp_lt_i32 s4, 1
	s_cbranch_scc1 .LBB4_26
; %bb.14:
	v_mad_u64_u32 v[1:2], null, s5, s24, v[0:1]
	s_load_b64 s[0:1], s[0:1], 0x38
	s_add_i32 s2, s4, 3
	s_delay_alu instid0(VALU_DEP_1) | instid1(SALU_CYCLE_1)
	v_mad_u64_u32 v[2:3], null, s6, s2, v[0:1]
	s_add_i32 s2, s4, 2
	s_delay_alu instid0(SALU_CYCLE_1) | instskip(SKIP_1) | instid1(SALU_CYCLE_1)
	v_mad_u64_u32 v[3:4], null, s6, s2, v[0:1]
	s_add_i32 s2, s4, 1
	v_mad_u64_u32 v[4:5], null, s6, s2, v[0:1]
	v_mad_u64_u32 v[5:6], null, s6, s4, v[0:1]
	;; [unrolled: 1-line block ×3, first 2 shown]
	s_mov_b32 s2, s4
	s_branch .LBB4_16
.LBB4_15:                               ;   in Loop: Header=BB4_16 Depth=1
	s_waitcnt lgkmcnt(0)
	s_delay_alu instid0(VALU_DEP_1)
	v_add_co_u32 v11, vcc_lo, s20, v11
	v_add_co_ci_u32_e32 v12, vcc_lo, s21, v12, vcc_lo
	v_lshlrev_b64 v[7:8], 3, v[7:8]
	v_subrev_nc_u32_e32 v1, s5, v1
	v_subrev_nc_u32_e32 v2, s6, v2
	global_load_b64 v[11:12], v[11:12], off
	v_subrev_nc_u32_e32 v3, s6, v3
	v_subrev_nc_u32_e32 v4, s6, v4
	v_add_co_u32 v13, vcc_lo, s12, v7
	v_add_co_ci_u32_e32 v14, vcc_lo, s13, v8, vcc_lo
	v_subrev_nc_u32_e32 v5, s6, v5
	v_subrev_nc_u32_e32 v6, s6, v6
	s_add_i32 s2, s2, -1
	global_load_b64 v[13:14], v[13:14], off
	s_cmp_gt_i32 s2, 0
	s_waitcnt vmcnt(1)
	v_add_f64 v[9:10], v[11:12], -v[9:10]
	s_waitcnt vmcnt(0)
	s_delay_alu instid0(VALU_DEP_1) | instskip(NEXT) | instid1(VALU_DEP_1)
	v_div_scale_f64 v[11:12], null, v[13:14], v[13:14], v[9:10]
	v_rcp_f64_e32 v[15:16], v[11:12]
	s_waitcnt_depctr 0xfff
	v_fma_f64 v[17:18], -v[11:12], v[15:16], 1.0
	s_delay_alu instid0(VALU_DEP_1) | instskip(NEXT) | instid1(VALU_DEP_1)
	v_fma_f64 v[15:16], v[15:16], v[17:18], v[15:16]
	v_fma_f64 v[17:18], -v[11:12], v[15:16], 1.0
	s_delay_alu instid0(VALU_DEP_1) | instskip(SKIP_1) | instid1(VALU_DEP_1)
	v_fma_f64 v[15:16], v[15:16], v[17:18], v[15:16]
	v_div_scale_f64 v[17:18], vcc_lo, v[9:10], v[13:14], v[9:10]
	v_mul_f64 v[19:20], v[17:18], v[15:16]
	s_delay_alu instid0(VALU_DEP_1) | instskip(NEXT) | instid1(VALU_DEP_1)
	v_fma_f64 v[11:12], -v[11:12], v[19:20], v[17:18]
	v_div_fmas_f64 v[11:12], v[11:12], v[15:16], v[19:20]
	v_add_co_u32 v7, vcc_lo, s0, v7
	v_add_co_ci_u32_e32 v8, vcc_lo, s1, v8, vcc_lo
	s_delay_alu instid0(VALU_DEP_3)
	v_div_fixup_f64 v[9:10], v[11:12], v[13:14], v[9:10]
	global_store_b64 v[7:8], v[9:10], off
	s_cbranch_scc0 .LBB4_26
.LBB4_16:                               ; =>This Inner Loop Header: Depth=1
	s_delay_alu instid0(VALU_DEP_1) | instskip(SKIP_3) | instid1(VALU_DEP_3)
	v_add_nc_u32_e32 v7, s7, v6
	v_mov_b32_e32 v9, 0
	v_mov_b32_e32 v10, 0
	s_cmp_ge_i32 s2, s4
	v_ashrrev_i32_e32 v8, 31, v7
	s_cbranch_scc1 .LBB4_18
; %bb.17:                               ;   in Loop: Header=BB4_16 Depth=1
	v_add_nc_u32_e32 v9, s7, v5
	s_delay_alu instid0(VALU_DEP_2) | instskip(NEXT) | instid1(VALU_DEP_2)
	v_lshlrev_b64 v[11:12], 3, v[7:8]
	v_ashrrev_i32_e32 v10, 31, v9
	s_waitcnt lgkmcnt(0)
	s_delay_alu instid0(VALU_DEP_2) | instskip(NEXT) | instid1(VALU_DEP_3)
	v_add_co_u32 v11, vcc_lo, s14, v11
	v_add_co_ci_u32_e32 v12, vcc_lo, s15, v12, vcc_lo
	s_delay_alu instid0(VALU_DEP_3) | instskip(NEXT) | instid1(VALU_DEP_1)
	v_lshlrev_b64 v[9:10], 3, v[9:10]
	v_add_co_u32 v9, vcc_lo, s0, v9
	s_delay_alu instid0(VALU_DEP_2)
	v_add_co_ci_u32_e32 v10, vcc_lo, s1, v10, vcc_lo
	global_load_b64 v[11:12], v[11:12], off
	global_load_b64 v[9:10], v[9:10], off
	s_waitcnt vmcnt(0)
	v_fma_f64 v[9:10], v[11:12], v[9:10], 0
.LBB4_18:                               ;   in Loop: Header=BB4_16 Depth=1
	s_add_i32 s3, s2, 1
	s_delay_alu instid0(SALU_CYCLE_1)
	s_cmp_ge_i32 s3, s4
	s_cbranch_scc1 .LBB4_20
; %bb.19:                               ;   in Loop: Header=BB4_16 Depth=1
	v_add_nc_u32_e32 v11, s7, v4
	v_lshlrev_b64 v[13:14], 3, v[7:8]
	s_delay_alu instid0(VALU_DEP_2) | instskip(SKIP_1) | instid1(VALU_DEP_2)
	v_ashrrev_i32_e32 v12, 31, v11
	s_waitcnt lgkmcnt(0)
	v_add_co_u32 v13, vcc_lo, s22, v13
	s_delay_alu instid0(VALU_DEP_3) | instskip(NEXT) | instid1(VALU_DEP_3)
	v_add_co_ci_u32_e32 v14, vcc_lo, s23, v14, vcc_lo
	v_lshlrev_b64 v[11:12], 3, v[11:12]
	s_delay_alu instid0(VALU_DEP_1) | instskip(NEXT) | instid1(VALU_DEP_2)
	v_add_co_u32 v11, vcc_lo, s0, v11
	v_add_co_ci_u32_e32 v12, vcc_lo, s1, v12, vcc_lo
	global_load_b64 v[13:14], v[13:14], off
	global_load_b64 v[11:12], v[11:12], off
	s_waitcnt vmcnt(0)
	v_fma_f64 v[9:10], v[13:14], v[11:12], v[9:10]
.LBB4_20:                               ;   in Loop: Header=BB4_16 Depth=1
	v_add_nc_u32_e32 v11, s7, v1
	s_add_i32 s3, s2, 2
	s_delay_alu instid0(SALU_CYCLE_1) | instskip(NEXT) | instid1(VALU_DEP_1)
	s_cmp_lt_i32 s3, s4
	v_ashrrev_i32_e32 v12, 31, v11
	s_cbranch_scc1 .LBB4_25
; %bb.21:                               ;   in Loop: Header=BB4_16 Depth=1
	s_cbranch_execnz .LBB4_23
.LBB4_22:                               ;   in Loop: Header=BB4_16 Depth=1
	v_add_nc_u32_e32 v13, s7, v3
	s_waitcnt vmcnt(3)
	v_lshlrev_b64 v[15:16], 3, v[11:12]
	s_delay_alu instid0(VALU_DEP_2) | instskip(SKIP_1) | instid1(VALU_DEP_2)
	v_ashrrev_i32_e32 v14, 31, v13
	s_waitcnt lgkmcnt(0)
	v_add_co_u32 v15, vcc_lo, s8, v15
	s_delay_alu instid0(VALU_DEP_3) | instskip(NEXT) | instid1(VALU_DEP_3)
	v_add_co_ci_u32_e32 v16, vcc_lo, s9, v16, vcc_lo
	v_lshlrev_b64 v[13:14], 3, v[13:14]
	s_delay_alu instid0(VALU_DEP_1) | instskip(NEXT) | instid1(VALU_DEP_2)
	v_add_co_u32 v13, vcc_lo, s0, v13
	v_add_co_ci_u32_e32 v14, vcc_lo, s1, v14, vcc_lo
	global_load_b64 v[15:16], v[15:16], off
	global_load_b64 v[13:14], v[13:14], off
	s_waitcnt vmcnt(0)
	v_fma_f64 v[9:10], v[15:16], v[13:14], v[9:10]
.LBB4_23:                               ;   in Loop: Header=BB4_16 Depth=1
	s_delay_alu instid0(VALU_DEP_1) | instskip(SKIP_1) | instid1(SALU_CYCLE_1)
	v_lshlrev_b64 v[11:12], 3, v[11:12]
	s_add_i32 s3, s2, 3
	s_cmp_ge_i32 s3, s4
	s_cbranch_scc1 .LBB4_15
; %bb.24:                               ;   in Loop: Header=BB4_16 Depth=1
	v_add_nc_u32_e32 v13, s7, v2
	s_waitcnt vmcnt(3) lgkmcnt(0)
	v_add_co_u32 v15, vcc_lo, s10, v11
	v_add_co_ci_u32_e32 v16, vcc_lo, s11, v12, vcc_lo
	s_delay_alu instid0(VALU_DEP_3) | instskip(NEXT) | instid1(VALU_DEP_1)
	v_ashrrev_i32_e32 v14, 31, v13
	v_lshlrev_b64 v[13:14], 3, v[13:14]
	s_delay_alu instid0(VALU_DEP_1) | instskip(NEXT) | instid1(VALU_DEP_2)
	v_add_co_u32 v13, vcc_lo, s0, v13
	v_add_co_ci_u32_e32 v14, vcc_lo, s1, v14, vcc_lo
	global_load_b64 v[15:16], v[15:16], off
	global_load_b64 v[13:14], v[13:14], off
	s_waitcnt vmcnt(0)
	v_fma_f64 v[9:10], v[15:16], v[13:14], v[9:10]
	s_branch .LBB4_15
.LBB4_25:                               ;   in Loop: Header=BB4_16 Depth=1
	s_branch .LBB4_22
.LBB4_26:
	s_nop 0
	s_sendmsg sendmsg(MSG_DEALLOC_VGPRS)
	s_endpgm
	.section	.rodata,"a",@progbits
	.p2align	6, 0x0
	.amdhsa_kernel _ZN9rocsparseL44gpsv_interleaved_batch_householder_qr_kernelILj256EdEEviiiPT0_S2_S2_S2_S2_S2_S2_S2_S2_
		.amdhsa_group_segment_fixed_size 0
		.amdhsa_private_segment_fixed_size 0
		.amdhsa_kernarg_size 344
		.amdhsa_user_sgpr_count 15
		.amdhsa_user_sgpr_dispatch_ptr 0
		.amdhsa_user_sgpr_queue_ptr 0
		.amdhsa_user_sgpr_kernarg_segment_ptr 1
		.amdhsa_user_sgpr_dispatch_id 0
		.amdhsa_user_sgpr_private_segment_size 0
		.amdhsa_wavefront_size32 1
		.amdhsa_uses_dynamic_stack 0
		.amdhsa_enable_private_segment 0
		.amdhsa_system_sgpr_workgroup_id_x 1
		.amdhsa_system_sgpr_workgroup_id_y 0
		.amdhsa_system_sgpr_workgroup_id_z 0
		.amdhsa_system_sgpr_workgroup_info 0
		.amdhsa_system_vgpr_workitem_id 0
		.amdhsa_next_free_vgpr 93
		.amdhsa_next_free_sgpr 28
		.amdhsa_reserve_vcc 1
		.amdhsa_float_round_mode_32 0
		.amdhsa_float_round_mode_16_64 0
		.amdhsa_float_denorm_mode_32 3
		.amdhsa_float_denorm_mode_16_64 3
		.amdhsa_dx10_clamp 1
		.amdhsa_ieee_mode 1
		.amdhsa_fp16_overflow 0
		.amdhsa_workgroup_processor_mode 1
		.amdhsa_memory_ordered 1
		.amdhsa_forward_progress 0
		.amdhsa_shared_vgpr_count 0
		.amdhsa_exception_fp_ieee_invalid_op 0
		.amdhsa_exception_fp_denorm_src 0
		.amdhsa_exception_fp_ieee_div_zero 0
		.amdhsa_exception_fp_ieee_overflow 0
		.amdhsa_exception_fp_ieee_underflow 0
		.amdhsa_exception_fp_ieee_inexact 0
		.amdhsa_exception_int_div_zero 0
	.end_amdhsa_kernel
	.section	.text._ZN9rocsparseL44gpsv_interleaved_batch_householder_qr_kernelILj256EdEEviiiPT0_S2_S2_S2_S2_S2_S2_S2_S2_,"axG",@progbits,_ZN9rocsparseL44gpsv_interleaved_batch_householder_qr_kernelILj256EdEEviiiPT0_S2_S2_S2_S2_S2_S2_S2_S2_,comdat
.Lfunc_end4:
	.size	_ZN9rocsparseL44gpsv_interleaved_batch_householder_qr_kernelILj256EdEEviiiPT0_S2_S2_S2_S2_S2_S2_S2_S2_, .Lfunc_end4-_ZN9rocsparseL44gpsv_interleaved_batch_householder_qr_kernelILj256EdEEviiiPT0_S2_S2_S2_S2_S2_S2_S2_S2_
                                        ; -- End function
	.section	.AMDGPU.csdata,"",@progbits
; Kernel info:
; codeLenInByte = 2844
; NumSgprs: 30
; NumVgprs: 93
; ScratchSize: 0
; MemoryBound: 0
; FloatMode: 240
; IeeeMode: 1
; LDSByteSize: 0 bytes/workgroup (compile time only)
; SGPRBlocks: 3
; VGPRBlocks: 11
; NumSGPRsForWavesPerEU: 30
; NumVGPRsForWavesPerEU: 93
; Occupancy: 16
; WaveLimiterHint : 0
; COMPUTE_PGM_RSRC2:SCRATCH_EN: 0
; COMPUTE_PGM_RSRC2:USER_SGPR: 15
; COMPUTE_PGM_RSRC2:TRAP_HANDLER: 0
; COMPUTE_PGM_RSRC2:TGID_X_EN: 1
; COMPUTE_PGM_RSRC2:TGID_Y_EN: 0
; COMPUTE_PGM_RSRC2:TGID_Z_EN: 0
; COMPUTE_PGM_RSRC2:TIDIG_COMP_CNT: 0
	.section	.text._ZN9rocsparseL39gpsv_interleaved_batch_givens_qr_kernelILj128EdEEviiiPT0_S2_S2_S2_S2_S2_S2_S2_,"axG",@progbits,_ZN9rocsparseL39gpsv_interleaved_batch_givens_qr_kernelILj128EdEEviiiPT0_S2_S2_S2_S2_S2_S2_S2_,comdat
	.globl	_ZN9rocsparseL39gpsv_interleaved_batch_givens_qr_kernelILj128EdEEviiiPT0_S2_S2_S2_S2_S2_S2_S2_ ; -- Begin function _ZN9rocsparseL39gpsv_interleaved_batch_givens_qr_kernelILj128EdEEviiiPT0_S2_S2_S2_S2_S2_S2_S2_
	.p2align	8
	.type	_ZN9rocsparseL39gpsv_interleaved_batch_givens_qr_kernelILj128EdEEviiiPT0_S2_S2_S2_S2_S2_S2_S2_,@function
_ZN9rocsparseL39gpsv_interleaved_batch_givens_qr_kernelILj128EdEEviiiPT0_S2_S2_S2_S2_S2_S2_S2_: ; @_ZN9rocsparseL39gpsv_interleaved_batch_givens_qr_kernelILj128EdEEviiiPT0_S2_S2_S2_S2_S2_S2_S2_
; %bb.0:
	s_load_b128 s[16:19], s[0:1], 0x0
	s_waitcnt lgkmcnt(0)
	s_lshl_b32 s19, s15, 7
	s_mov_b32 s2, exec_lo
	v_or_b32_e32 v1, s19, v0
	s_delay_alu instid0(VALU_DEP_1)
	v_cmpx_gt_i32_e64 s17, v1
	s_cbranch_execz .LBB5_7
; %bb.1:
	s_clause 0x2
	s_load_b64 s[2:3], s[0:1], 0x48
	s_load_b128 s[12:15], s[0:1], 0x38
	s_load_b256 s[4:11], s[0:1], 0x18
	s_add_i32 s22, s16, -2
	s_cmp_lt_i32 s16, 3
	s_cbranch_scc1 .LBB5_4
; %bb.2:
	s_load_b64 s[20:21], s[0:1], 0x10
	v_mov_b32_e32 v3, v1
	v_mov_b32_e32 v2, v1
	s_lshl_b32 s1, s18, 1
	s_mov_b32 s23, s22
.LBB5_3:                                ; =>This Inner Loop Header: Depth=1
	s_delay_alu instid0(VALU_DEP_2) | instskip(SKIP_2) | instid1(SALU_CYCLE_1)
	v_add_nc_u32_e32 v4, s1, v3
	v_add_nc_u32_e32 v6, s18, v3
	s_add_i32 s23, s23, -1
	s_cmp_eq_u32 s23, 0
	s_delay_alu instid0(VALU_DEP_2) | instskip(NEXT) | instid1(VALU_DEP_2)
	v_ashrrev_i32_e32 v5, 31, v4
	v_ashrrev_i32_e32 v7, 31, v6
	s_delay_alu instid0(VALU_DEP_2) | instskip(NEXT) | instid1(VALU_DEP_2)
	v_lshlrev_b64 v[8:9], 3, v[4:5]
	v_lshlrev_b64 v[12:13], 3, v[6:7]
	s_waitcnt lgkmcnt(0)
	s_delay_alu instid0(VALU_DEP_2) | instskip(NEXT) | instid1(VALU_DEP_3)
	v_add_co_u32 v4, vcc_lo, s20, v8
	v_add_co_ci_u32_e32 v5, vcc_lo, s21, v9, vcc_lo
	s_delay_alu instid0(VALU_DEP_3) | instskip(NEXT) | instid1(VALU_DEP_4)
	v_add_co_u32 v14, vcc_lo, s4, v12
	v_add_co_ci_u32_e32 v15, vcc_lo, s5, v13, vcc_lo
	global_load_b64 v[10:11], v[4:5], off
	v_add_co_u32 v18, vcc_lo, s4, v8
	global_load_b64 v[16:17], v[14:15], off
	v_add_co_ci_u32_e32 v19, vcc_lo, s5, v9, vcc_lo
	global_load_b64 v[20:21], v[18:19], off
	s_waitcnt vmcnt(2)
	v_mul_f64 v[4:5], v[10:11], v[10:11]
	s_waitcnt vmcnt(1)
	s_delay_alu instid0(VALU_DEP_1) | instskip(NEXT) | instid1(VALU_DEP_1)
	v_fma_f64 v[4:5], v[16:17], v[16:17], v[4:5]
	v_cmp_gt_f64_e32 vcc_lo, 0x10000000, v[4:5]
	v_cndmask_b32_e64 v7, 0, 1, vcc_lo
	s_delay_alu instid0(VALU_DEP_1) | instskip(NEXT) | instid1(VALU_DEP_1)
	v_lshlrev_b32_e32 v7, 8, v7
	v_ldexp_f64 v[4:5], v[4:5], v7
	v_cndmask_b32_e64 v7, 0, 0xffffff80, vcc_lo
	s_delay_alu instid0(VALU_DEP_2) | instskip(SKIP_4) | instid1(VALU_DEP_1)
	v_rsq_f64_e32 v[22:23], v[4:5]
	v_cmp_class_f64_e64 vcc_lo, v[4:5], 0x260
	s_waitcnt_depctr 0xfff
	v_mul_f64 v[24:25], v[4:5], v[22:23]
	v_mul_f64 v[22:23], v[22:23], 0.5
	v_fma_f64 v[26:27], -v[22:23], v[24:25], 0.5
	s_delay_alu instid0(VALU_DEP_1) | instskip(SKIP_1) | instid1(VALU_DEP_2)
	v_fma_f64 v[24:25], v[24:25], v[26:27], v[24:25]
	v_fma_f64 v[22:23], v[22:23], v[26:27], v[22:23]
	v_fma_f64 v[26:27], -v[24:25], v[24:25], v[4:5]
	s_delay_alu instid0(VALU_DEP_1) | instskip(NEXT) | instid1(VALU_DEP_1)
	v_fma_f64 v[24:25], v[26:27], v[22:23], v[24:25]
	v_fma_f64 v[26:27], -v[24:25], v[24:25], v[4:5]
	s_delay_alu instid0(VALU_DEP_1) | instskip(NEXT) | instid1(VALU_DEP_1)
	v_fma_f64 v[22:23], v[26:27], v[22:23], v[24:25]
	v_ldexp_f64 v[22:23], v[22:23], v7
	s_delay_alu instid0(VALU_DEP_1) | instskip(SKIP_2) | instid1(VALU_DEP_3)
	v_dual_cndmask_b32 v4, v22, v4 :: v_dual_cndmask_b32 v5, v23, v5
	v_add_co_u32 v26, vcc_lo, s6, v8
	v_add_co_ci_u32_e32 v27, vcc_lo, s7, v9, vcc_lo
	v_div_scale_f64 v[22:23], null, v[4:5], v[4:5], v[16:17]
	v_div_scale_f64 v[24:25], null, v[4:5], v[4:5], v[10:11]
	v_add_co_u32 v32, vcc_lo, s6, v12
	v_add_co_ci_u32_e32 v33, vcc_lo, s7, v13, vcc_lo
	s_clause 0x1
	global_load_b64 v[36:37], v[26:27], off
	global_load_b64 v[38:39], v[32:33], off
	v_add_co_u32 v34, vcc_lo, s8, v12
	v_add_co_ci_u32_e32 v35, vcc_lo, s9, v13, vcc_lo
	v_div_scale_f64 v[46:47], vcc_lo, v[16:17], v[4:5], v[16:17]
	v_div_scale_f64 v[48:49], s0, v[10:11], v[4:5], v[10:11]
	global_load_b64 v[44:45], v[34:35], off
	v_rcp_f64_e32 v[28:29], v[22:23]
	v_rcp_f64_e32 v[30:31], v[24:25]
	s_waitcnt_depctr 0xfff
	v_fma_f64 v[40:41], -v[22:23], v[28:29], 1.0
	v_fma_f64 v[42:43], -v[24:25], v[30:31], 1.0
	s_delay_alu instid0(VALU_DEP_2) | instskip(NEXT) | instid1(VALU_DEP_2)
	v_fma_f64 v[28:29], v[28:29], v[40:41], v[28:29]
	v_fma_f64 v[30:31], v[30:31], v[42:43], v[30:31]
	s_delay_alu instid0(VALU_DEP_2) | instskip(NEXT) | instid1(VALU_DEP_2)
	v_fma_f64 v[40:41], -v[22:23], v[28:29], 1.0
	v_fma_f64 v[42:43], -v[24:25], v[30:31], 1.0
	s_delay_alu instid0(VALU_DEP_2) | instskip(NEXT) | instid1(VALU_DEP_2)
	v_fma_f64 v[28:29], v[28:29], v[40:41], v[28:29]
	v_fma_f64 v[30:31], v[30:31], v[42:43], v[30:31]
	s_delay_alu instid0(VALU_DEP_2) | instskip(NEXT) | instid1(VALU_DEP_2)
	v_mul_f64 v[40:41], v[46:47], v[28:29]
	v_mul_f64 v[42:43], v[48:49], v[30:31]
	s_delay_alu instid0(VALU_DEP_2) | instskip(NEXT) | instid1(VALU_DEP_2)
	v_fma_f64 v[22:23], -v[22:23], v[40:41], v[46:47]
	v_fma_f64 v[24:25], -v[24:25], v[42:43], v[48:49]
	s_delay_alu instid0(VALU_DEP_2) | instskip(SKIP_1) | instid1(VALU_DEP_2)
	v_div_fmas_f64 v[22:23], v[22:23], v[28:29], v[40:41]
	s_mov_b32 vcc_lo, s0
	v_div_fmas_f64 v[24:25], v[24:25], v[30:31], v[42:43]
	v_add_co_u32 v30, vcc_lo, s8, v8
	v_add_co_ci_u32_e32 v31, vcc_lo, s9, v9, vcc_lo
	global_load_b64 v[40:41], v[30:31], off
	v_div_fixup_f64 v[22:23], v[22:23], v[4:5], v[16:17]
	v_div_fixup_f64 v[24:25], v[24:25], v[4:5], v[10:11]
	s_waitcnt vmcnt(3)
	s_delay_alu instid0(VALU_DEP_2) | instskip(NEXT) | instid1(VALU_DEP_2)
	v_mul_f64 v[4:5], v[36:37], v[22:23]
	v_mul_f64 v[28:29], v[20:21], v[24:25]
	;; [unrolled: 1-line block ×5, first 2 shown]
	s_waitcnt vmcnt(1)
	v_fma_f64 v[42:43], -v[44:45], v[24:25], v[4:5]
	v_ashrrev_i32_e32 v4, 31, v3
	v_fma_f64 v[28:29], v[38:39], v[22:23], v[28:29]
	v_fma_f64 v[10:11], v[16:17], v[22:23], v[10:11]
	;; [unrolled: 1-line block ×3, first 2 shown]
	s_delay_alu instid0(VALU_DEP_4)
	v_lshlrev_b64 v[4:5], 3, v[3:4]
	v_fma_f64 v[20:21], -v[38:39], v[24:25], v[20:21]
	s_clause 0x1
	global_store_b64 v[32:33], v[28:29], off
	global_store_b64 v[26:27], v[42:43], off
	v_add_co_u32 v46, vcc_lo, s6, v4
	v_add_co_ci_u32_e32 v47, vcc_lo, s7, v5, vcc_lo
	v_mul_f64 v[16:17], v[10:11], v[10:11]
	v_add_co_u32 v42, s0, s2, v8
	global_load_b64 v[26:27], v[46:47], off
	v_add_co_ci_u32_e64 v43, s0, s3, v9, s0
	v_add_co_u32 v50, s0, s2, v12
	s_delay_alu instid0(VALU_DEP_1) | instskip(SKIP_4) | instid1(VALU_DEP_1)
	v_add_co_ci_u32_e64 v51, s0, s3, v13, s0
	s_clause 0x1
	global_load_b64 v[52:53], v[42:43], off
	global_load_b64 v[54:55], v[50:51], off
	v_add_co_u32 v7, s0, s10, v8
	v_add_co_ci_u32_e64 v8, s0, s11, v9, s0
	v_add_co_u32 v12, s0, s10, v12
	s_delay_alu instid0(VALU_DEP_1)
	v_add_co_ci_u32_e64 v13, s0, s11, v13, s0
	global_load_b64 v[58:59], v[7:8], off
	v_add_co_u32 v64, s0, s8, v4
	global_load_b64 v[62:63], v[12:13], off
	v_add_co_ci_u32_e64 v65, s0, s9, v5, s0
	s_waitcnt vmcnt(5)
	v_mul_f64 v[74:75], v[22:23], v[40:41]
	v_mul_f64 v[40:41], v[24:25], v[40:41]
	s_waitcnt vmcnt(4)
	v_fma_f64 v[16:17], v[26:27], v[26:27], v[16:17]
	s_waitcnt vmcnt(3)
	v_mul_f64 v[66:67], v[22:23], v[52:53]
	v_mul_f64 v[52:53], v[24:25], v[52:53]
	s_waitcnt vmcnt(1)
	v_mul_f64 v[78:79], v[22:23], v[58:59]
	s_waitcnt vmcnt(0)
	v_fma_f64 v[74:75], -v[62:63], v[24:25], v[74:75]
	v_fma_f64 v[40:41], v[62:63], v[22:23], v[40:41]
	v_cmp_gt_f64_e32 vcc_lo, 0x10000000, v[16:17]
	v_fma_f64 v[66:67], -v[54:55], v[24:25], v[66:67]
	v_fma_f64 v[52:53], v[54:55], v[22:23], v[52:53]
	s_clause 0x1
	global_store_b64 v[50:51], v[52:53], off
	global_store_b64 v[42:43], v[66:67], off
	v_cndmask_b32_e64 v3, 0, 1, vcc_lo
	global_load_b64 v[42:43], v[50:51], off
	v_lshlrev_b32_e32 v3, 8, v3
	s_delay_alu instid0(VALU_DEP_1) | instskip(SKIP_1) | instid1(VALU_DEP_2)
	v_ldexp_f64 v[16:17], v[16:17], v3
	v_cndmask_b32_e64 v3, 0, 0xffffff80, vcc_lo
	v_rsq_f64_e32 v[48:49], v[16:17]
	v_cmp_class_f64_e64 vcc_lo, v[16:17], 0x260
	s_waitcnt_depctr 0xfff
	v_mul_f64 v[56:57], v[16:17], v[48:49]
	v_mul_f64 v[48:49], v[48:49], 0.5
	s_delay_alu instid0(VALU_DEP_1) | instskip(NEXT) | instid1(VALU_DEP_1)
	v_fma_f64 v[60:61], -v[48:49], v[56:57], 0.5
	v_fma_f64 v[56:57], v[56:57], v[60:61], v[56:57]
	v_fma_f64 v[48:49], v[48:49], v[60:61], v[48:49]
	s_delay_alu instid0(VALU_DEP_2) | instskip(NEXT) | instid1(VALU_DEP_1)
	v_fma_f64 v[60:61], -v[56:57], v[56:57], v[16:17]
	v_fma_f64 v[56:57], v[60:61], v[48:49], v[56:57]
	s_delay_alu instid0(VALU_DEP_1) | instskip(NEXT) | instid1(VALU_DEP_1)
	v_fma_f64 v[60:61], -v[56:57], v[56:57], v[16:17]
	v_fma_f64 v[48:49], v[60:61], v[48:49], v[56:57]
	s_delay_alu instid0(VALU_DEP_1) | instskip(SKIP_1) | instid1(VALU_DEP_1)
	v_ldexp_f64 v[48:49], v[48:49], v3
	v_ashrrev_i32_e32 v3, 31, v2
	v_lshlrev_b64 v[60:61], 3, v[2:3]
	s_delay_alu instid0(VALU_DEP_3) | instskip(SKIP_3) | instid1(VALU_DEP_4)
	v_dual_cndmask_b32 v16, v48, v16 :: v_dual_cndmask_b32 v17, v49, v17
	v_add_nc_u32_e32 v56, s17, v2
	v_add_co_u32 v70, vcc_lo, s10, v4
	v_add_co_ci_u32_e32 v71, vcc_lo, s11, v5, vcc_lo
	v_div_scale_f64 v[48:49], null, v[16:17], v[16:17], v[26:27]
	v_div_scale_f64 v[68:69], null, v[16:17], v[16:17], v[10:11]
	v_ashrrev_i32_e32 v57, 31, v56
	v_add_co_u32 v72, vcc_lo, s12, v60
	v_add_co_ci_u32_e32 v73, vcc_lo, s13, v61, vcc_lo
	s_delay_alu instid0(VALU_DEP_3) | instskip(SKIP_3) | instid1(VALU_DEP_4)
	v_lshlrev_b64 v[2:3], 3, v[56:57]
	v_mul_f64 v[57:58], v[24:25], v[58:59]
	v_add_co_u32 v4, vcc_lo, s2, v4
	v_add_co_ci_u32_e32 v5, vcc_lo, s3, v5, vcc_lo
	v_add_co_u32 v44, vcc_lo, s12, v2
	v_add_co_ci_u32_e32 v45, vcc_lo, s13, v3, vcc_lo
	v_rcp_f64_e32 v[54:55], v[48:49]
	v_rcp_f64_e32 v[76:77], v[68:69]
	global_store_b64 v[44:45], v[57:58], off
	global_load_b64 v[2:3], v[72:73], off
	s_clause 0x1
	global_store_b64 v[34:35], v[36:37], off
	global_store_b64 v[30:31], v[74:75], off
	s_clause 0x1
	global_store_b64 v[12:13], v[40:41], off
	global_store_b64 v[7:8], v[78:79], off
	global_load_b64 v[7:8], v[64:65], off
	global_load_b64 v[30:31], v[70:71], off
	;; [unrolled: 1-line block ×3, first 2 shown]
	v_div_scale_f64 v[78:79], s0, v[10:11], v[16:17], v[10:11]
	v_fma_f64 v[52:53], -v[48:49], v[54:55], 1.0
	v_fma_f64 v[62:63], -v[68:69], v[76:77], 1.0
	s_delay_alu instid0(VALU_DEP_2) | instskip(NEXT) | instid1(VALU_DEP_2)
	v_fma_f64 v[52:53], v[54:55], v[52:53], v[54:55]
	v_fma_f64 v[54:55], v[76:77], v[62:63], v[76:77]
	v_div_scale_f64 v[76:77], vcc_lo, v[26:27], v[16:17], v[26:27]
	s_delay_alu instid0(VALU_DEP_3) | instskip(NEXT) | instid1(VALU_DEP_3)
	v_fma_f64 v[62:63], -v[48:49], v[52:53], 1.0
	v_fma_f64 v[74:75], -v[68:69], v[54:55], 1.0
	s_delay_alu instid0(VALU_DEP_2) | instskip(NEXT) | instid1(VALU_DEP_2)
	v_fma_f64 v[52:53], v[52:53], v[62:63], v[52:53]
	v_fma_f64 v[54:55], v[54:55], v[74:75], v[54:55]
	s_delay_alu instid0(VALU_DEP_2) | instskip(NEXT) | instid1(VALU_DEP_2)
	v_mul_f64 v[62:63], v[76:77], v[52:53]
	v_mul_f64 v[74:75], v[78:79], v[54:55]
	s_delay_alu instid0(VALU_DEP_2) | instskip(NEXT) | instid1(VALU_DEP_2)
	v_fma_f64 v[48:49], -v[48:49], v[62:63], v[76:77]
	v_fma_f64 v[68:69], -v[68:69], v[74:75], v[78:79]
	s_delay_alu instid0(VALU_DEP_2) | instskip(SKIP_1) | instid1(VALU_DEP_2)
	v_div_fmas_f64 v[48:49], v[48:49], v[52:53], v[62:63]
	s_mov_b32 vcc_lo, s0
	v_div_fmas_f64 v[52:53], v[68:69], v[54:55], v[74:75]
	s_delay_alu instid0(VALU_DEP_2) | instskip(NEXT) | instid1(VALU_DEP_2)
	v_div_fixup_f64 v[48:49], v[48:49], v[16:17], v[26:27]
	v_div_fixup_f64 v[16:17], v[52:53], v[16:17], v[10:11]
	s_delay_alu instid0(VALU_DEP_2) | instskip(SKIP_2) | instid1(VALU_DEP_4)
	v_mul_f64 v[22:23], v[28:29], v[48:49]
	v_mul_f64 v[52:53], v[36:37], v[48:49]
	;; [unrolled: 1-line block ×7, first 2 shown]
	s_waitcnt vmcnt(4)
	v_mul_f64 v[62:63], v[48:49], v[42:43]
	v_mul_f64 v[42:43], v[16:17], v[42:43]
	v_mul_f64 v[38:39], v[57:58], v[16:17]
	v_mul_f64 v[24:25], v[57:58], v[48:49]
	s_waitcnt vmcnt(2)
	v_fma_f64 v[22:23], -v[7:8], v[16:17], v[22:23]
	s_waitcnt vmcnt(1)
	v_fma_f64 v[52:53], -v[30:31], v[16:17], v[52:53]
	v_fma_f64 v[54:55], -v[2:3], v[16:17], v[54:55]
	v_fma_f64 v[26:27], v[26:27], v[48:49], v[68:69]
	v_fma_f64 v[7:8], v[7:8], v[48:49], v[28:29]
	;; [unrolled: 1-line block ×4, first 2 shown]
	v_mov_b32_e32 v3, v6
	s_waitcnt vmcnt(0)
	v_fma_f64 v[36:37], v[66:67], v[48:49], v[42:43]
	v_fma_f64 v[16:17], -v[66:67], v[16:17], v[62:63]
	v_mov_b32_e32 v2, v56
	v_add_co_u32 v40, vcc_lo, s14, v60
	v_add_co_ci_u32_e32 v41, vcc_lo, s15, v61, vcc_lo
	s_clause 0x1
	global_store_b64 v[14:15], v[10:11], off
	global_store_b64 v[18:19], v[20:21], off
	;; [unrolled: 1-line block ×3, first 2 shown]
	s_clause 0x1
	global_store_b64 v[46:47], v[26:27], off
	global_store_b64 v[32:33], v[22:23], off
	s_clause 0x1
	global_store_b64 v[64:65], v[7:8], off
	global_store_b64 v[34:35], v[52:53], off
	;; [unrolled: 3-line block ×5, first 2 shown]
	s_cbranch_scc0 .LBB5_3
.LBB5_4:
	s_add_i32 s1, s16, -1
	s_delay_alu instid0(SALU_CYCLE_1) | instskip(NEXT) | instid1(SALU_CYCLE_1)
	s_mul_i32 s1, s1, s18
	v_add_nc_u32_e32 v2, s1, v1
	s_delay_alu instid0(VALU_DEP_1) | instskip(NEXT) | instid1(VALU_DEP_1)
	v_ashrrev_i32_e32 v3, 31, v2
	v_lshlrev_b64 v[2:3], 3, v[2:3]
	s_waitcnt lgkmcnt(0)
	s_delay_alu instid0(VALU_DEP_1) | instskip(NEXT) | instid1(VALU_DEP_2)
	v_add_co_u32 v4, vcc_lo, s4, v2
	v_add_co_ci_u32_e32 v5, vcc_lo, s5, v3, vcc_lo
	s_sub_i32 s4, s1, s18
	s_delay_alu instid0(SALU_CYCLE_1) | instskip(SKIP_2) | instid1(VALU_DEP_1)
	v_add_nc_u32_e32 v6, s4, v1
	global_load_b64 v[4:5], v[4:5], off
	v_ashrrev_i32_e32 v7, 31, v6
	v_lshlrev_b64 v[6:7], 3, v[6:7]
	s_delay_alu instid0(VALU_DEP_1) | instskip(NEXT) | instid1(VALU_DEP_2)
	v_add_co_u32 v8, vcc_lo, s6, v6
	v_add_co_ci_u32_e32 v9, vcc_lo, s7, v7, vcc_lo
	v_add_co_u32 v14, vcc_lo, s6, v2
	v_add_co_ci_u32_e32 v15, vcc_lo, s7, v3, vcc_lo
	s_clause 0x1
	global_load_b64 v[10:11], v[8:9], off
	global_load_b64 v[16:17], v[14:15], off
	s_waitcnt vmcnt(2)
	v_mul_f64 v[12:13], v[4:5], v[4:5]
	s_waitcnt vmcnt(1)
	s_delay_alu instid0(VALU_DEP_1) | instskip(NEXT) | instid1(VALU_DEP_1)
	v_fma_f64 v[12:13], v[10:11], v[10:11], v[12:13]
	v_cmp_gt_f64_e32 vcc_lo, 0x10000000, v[12:13]
	v_cndmask_b32_e64 v18, 0, 1, vcc_lo
	s_delay_alu instid0(VALU_DEP_1) | instskip(NEXT) | instid1(VALU_DEP_1)
	v_lshlrev_b32_e32 v18, 8, v18
	v_ldexp_f64 v[12:13], v[12:13], v18
	s_delay_alu instid0(VALU_DEP_1) | instskip(SKIP_3) | instid1(VALU_DEP_1)
	v_rsq_f64_e32 v[18:19], v[12:13]
	s_waitcnt_depctr 0xfff
	v_mul_f64 v[20:21], v[12:13], v[18:19]
	v_mul_f64 v[18:19], v[18:19], 0.5
	v_fma_f64 v[22:23], -v[18:19], v[20:21], 0.5
	s_delay_alu instid0(VALU_DEP_1) | instskip(SKIP_1) | instid1(VALU_DEP_2)
	v_fma_f64 v[20:21], v[20:21], v[22:23], v[20:21]
	v_fma_f64 v[18:19], v[18:19], v[22:23], v[18:19]
	v_fma_f64 v[22:23], -v[20:21], v[20:21], v[12:13]
	s_delay_alu instid0(VALU_DEP_1) | instskip(NEXT) | instid1(VALU_DEP_1)
	v_fma_f64 v[20:21], v[22:23], v[18:19], v[20:21]
	v_fma_f64 v[22:23], -v[20:21], v[20:21], v[12:13]
	s_delay_alu instid0(VALU_DEP_1) | instskip(SKIP_2) | instid1(VALU_DEP_2)
	v_fma_f64 v[18:19], v[22:23], v[18:19], v[20:21]
	v_cndmask_b32_e64 v20, 0, 0xffffff80, vcc_lo
	v_cmp_class_f64_e64 vcc_lo, v[12:13], 0x260
	v_ldexp_f64 v[18:19], v[18:19], v20
	s_delay_alu instid0(VALU_DEP_1) | instskip(SKIP_2) | instid1(VALU_DEP_3)
	v_dual_cndmask_b32 v13, v19, v13 :: v_dual_cndmask_b32 v12, v18, v12
	v_add_co_u32 v24, vcc_lo, s2, v2
	v_add_co_ci_u32_e32 v25, vcc_lo, s3, v3, vcc_lo
	v_div_scale_f64 v[18:19], null, v[12:13], v[12:13], v[10:11]
	v_div_scale_f64 v[20:21], null, v[12:13], v[12:13], v[4:5]
	global_load_b64 v[26:27], v[24:25], off
	v_add_co_u32 v32, vcc_lo, s8, v6
	v_add_co_ci_u32_e32 v33, vcc_lo, s9, v7, vcc_lo
	v_add_co_u32 v34, vcc_lo, s2, v6
	v_add_co_ci_u32_e32 v35, vcc_lo, s3, v7, vcc_lo
	global_load_b64 v[36:37], v[32:33], off
	global_load_b64 v[38:39], v[34:35], off
	v_div_scale_f64 v[42:43], vcc_lo, v[10:11], v[12:13], v[10:11]
	v_rcp_f64_e32 v[22:23], v[18:19]
	v_rcp_f64_e32 v[28:29], v[20:21]
	s_waitcnt_depctr 0xfff
	v_fma_f64 v[30:31], -v[18:19], v[22:23], 1.0
	v_fma_f64 v[40:41], -v[20:21], v[28:29], 1.0
	s_delay_alu instid0(VALU_DEP_2) | instskip(NEXT) | instid1(VALU_DEP_2)
	v_fma_f64 v[22:23], v[22:23], v[30:31], v[22:23]
	v_fma_f64 v[28:29], v[28:29], v[40:41], v[28:29]
	s_delay_alu instid0(VALU_DEP_2) | instskip(NEXT) | instid1(VALU_DEP_2)
	v_fma_f64 v[30:31], -v[18:19], v[22:23], 1.0
	v_fma_f64 v[40:41], -v[20:21], v[28:29], 1.0
	s_delay_alu instid0(VALU_DEP_2) | instskip(SKIP_1) | instid1(VALU_DEP_3)
	v_fma_f64 v[22:23], v[22:23], v[30:31], v[22:23]
	v_div_scale_f64 v[30:31], s0, v[4:5], v[12:13], v[4:5]
	v_fma_f64 v[28:29], v[28:29], v[40:41], v[28:29]
	s_delay_alu instid0(VALU_DEP_3) | instskip(NEXT) | instid1(VALU_DEP_2)
	v_mul_f64 v[40:41], v[42:43], v[22:23]
	v_mul_f64 v[44:45], v[30:31], v[28:29]
	s_delay_alu instid0(VALU_DEP_2) | instskip(NEXT) | instid1(VALU_DEP_2)
	v_fma_f64 v[18:19], -v[18:19], v[40:41], v[42:43]
	v_fma_f64 v[20:21], -v[20:21], v[44:45], v[30:31]
	s_delay_alu instid0(VALU_DEP_2) | instskip(SKIP_2) | instid1(VALU_DEP_2)
	v_div_fmas_f64 v[18:19], v[18:19], v[22:23], v[40:41]
	s_mov_b32 vcc_lo, s0
	s_sub_i32 s0, s4, s18
	v_div_fmas_f64 v[20:21], v[20:21], v[28:29], v[44:45]
	v_add_co_u32 v28, vcc_lo, s8, v2
	v_add_co_ci_u32_e32 v29, vcc_lo, s9, v3, vcc_lo
	v_add_co_u32 v6, vcc_lo, s10, v6
	v_add_co_ci_u32_e32 v7, vcc_lo, s11, v7, vcc_lo
	global_load_b64 v[30:31], v[28:29], off
	global_load_b64 v[42:43], v[6:7], off
	v_div_fixup_f64 v[18:19], v[18:19], v[12:13], v[10:11]
	v_div_fixup_f64 v[12:13], v[20:21], v[12:13], v[4:5]
	s_waitcnt vmcnt(5)
	s_delay_alu instid0(VALU_DEP_2) | instskip(SKIP_2) | instid1(VALU_DEP_3)
	v_mul_f64 v[20:21], v[16:17], v[18:19]
	s_waitcnt vmcnt(4)
	v_mul_f64 v[22:23], v[18:19], v[26:27]
	v_mul_f64 v[16:17], v[16:17], v[12:13]
	;; [unrolled: 1-line block ×4, first 2 shown]
	s_waitcnt vmcnt(3)
	v_fma_f64 v[20:21], -v[36:37], v[12:13], v[20:21]
	s_waitcnt vmcnt(2)
	v_fma_f64 v[22:23], -v[38:39], v[12:13], v[22:23]
	v_fma_f64 v[16:17], v[36:37], v[18:19], v[16:17]
	v_fma_f64 v[26:27], v[38:39], v[18:19], v[26:27]
	v_fma_f64 v[4:5], v[10:11], v[18:19], v[4:5]
	s_delay_alu instid0(VALU_DEP_4) | instskip(SKIP_1) | instid1(VALU_DEP_2)
	v_div_scale_f64 v[40:41], null, v[20:21], v[20:21], v[22:23]
	v_div_scale_f64 v[48:49], vcc_lo, v[22:23], v[20:21], v[22:23]
	v_rcp_f64_e32 v[44:45], v[40:41]
	s_waitcnt_depctr 0xfff
	v_fma_f64 v[46:47], -v[40:41], v[44:45], 1.0
	s_delay_alu instid0(VALU_DEP_1) | instskip(NEXT) | instid1(VALU_DEP_1)
	v_fma_f64 v[44:45], v[44:45], v[46:47], v[44:45]
	v_fma_f64 v[46:47], -v[40:41], v[44:45], 1.0
	s_delay_alu instid0(VALU_DEP_1) | instskip(NEXT) | instid1(VALU_DEP_1)
	v_fma_f64 v[44:45], v[44:45], v[46:47], v[44:45]
	v_mul_f64 v[46:47], v[48:49], v[44:45]
	s_delay_alu instid0(VALU_DEP_1) | instskip(SKIP_2) | instid1(VALU_DEP_2)
	v_fma_f64 v[40:41], -v[40:41], v[46:47], v[48:49]
	s_waitcnt vmcnt(1)
	v_mul_f64 v[48:49], v[30:31], v[18:19]
	v_div_fmas_f64 v[40:41], v[40:41], v[44:45], v[46:47]
	v_add_co_u32 v2, vcc_lo, s10, v2
	v_add_co_ci_u32_e32 v3, vcc_lo, s11, v3, vcc_lo
	global_load_b64 v[44:45], v[2:3], off
	s_waitcnt vmcnt(1)
	v_fma_f64 v[36:37], -v[42:43], v[12:13], v[48:49]
	s_clause 0x1
	global_store_b64 v[32:33], v[16:17], off
	global_store_b64 v[28:29], v[36:37], off
	;; [unrolled: 1-line block ×3, first 2 shown]
	v_div_fixup_f64 v[22:23], v[40:41], v[20:21], v[22:23]
	global_load_b64 v[10:11], v[32:33], off
	global_store_b64 v[24:25], v[22:23], off
	global_load_b64 v[16:17], v[34:35], off
	s_clause 0x1
	global_store_b64 v[8:9], v[4:5], off
	global_store_b64 v[14:15], v[20:21], off
	global_load_b64 v[4:5], v[8:9], off
	v_mad_u64_u32 v[14:15], null, s22, s17, v[1:2]
	s_delay_alu instid0(VALU_DEP_1) | instskip(NEXT) | instid1(VALU_DEP_1)
	v_ashrrev_i32_e32 v15, 31, v14
	v_lshlrev_b64 v[20:21], 3, v[14:15]
	s_waitcnt vmcnt(1)
	v_fma_f64 v[8:9], -v[22:23], v[10:11], v[16:17]
	s_delay_alu instid0(VALU_DEP_2) | instskip(NEXT) | instid1(VALU_DEP_3)
	v_add_co_u32 v22, vcc_lo, s12, v20
	v_add_co_ci_u32_e32 v23, vcc_lo, s13, v21, vcc_lo
	global_load_b64 v[26:27], v[22:23], off
	s_waitcnt vmcnt(1)
	v_div_scale_f64 v[10:11], null, v[4:5], v[4:5], v[8:9]
	v_div_scale_f64 v[32:33], vcc_lo, v[8:9], v[4:5], v[8:9]
	s_delay_alu instid0(VALU_DEP_2) | instskip(SKIP_2) | instid1(VALU_DEP_1)
	v_rcp_f64_e32 v[16:17], v[10:11]
	s_waitcnt_depctr 0xfff
	v_fma_f64 v[28:29], -v[10:11], v[16:17], 1.0
	v_fma_f64 v[15:16], v[16:17], v[28:29], v[16:17]
	s_delay_alu instid0(VALU_DEP_1) | instskip(NEXT) | instid1(VALU_DEP_1)
	v_fma_f64 v[28:29], -v[10:11], v[15:16], 1.0
	v_fma_f64 v[15:16], v[15:16], v[28:29], v[15:16]
	s_delay_alu instid0(VALU_DEP_1) | instskip(NEXT) | instid1(VALU_DEP_1)
	v_mul_f64 v[28:29], v[32:33], v[15:16]
	v_fma_f64 v[10:11], -v[10:11], v[28:29], v[32:33]
	s_delay_alu instid0(VALU_DEP_1) | instskip(SKIP_2) | instid1(VALU_DEP_3)
	v_div_fmas_f64 v[10:11], v[10:11], v[15:16], v[28:29]
	v_mul_f64 v[15:16], v[18:19], v[44:45]
	v_mul_f64 v[28:29], v[30:31], v[12:13]
	v_div_fixup_f64 v[4:5], v[10:11], v[4:5], v[8:9]
	v_add_nc_u32_e32 v8, s17, v14
	v_add_nc_u32_e32 v10, s0, v1
	s_sub_i32 s0, s0, s18
	s_cmp_lt_i32 s16, 5
	s_delay_alu instid0(VALU_DEP_2) | instskip(NEXT) | instid1(VALU_DEP_2)
	v_ashrrev_i32_e32 v9, 31, v8
	v_ashrrev_i32_e32 v11, 31, v10
	s_delay_alu instid0(VALU_DEP_2) | instskip(NEXT) | instid1(VALU_DEP_2)
	v_lshlrev_b64 v[30:31], 3, v[8:9]
	v_lshlrev_b64 v[9:10], 3, v[10:11]
	s_delay_alu instid0(VALU_DEP_2) | instskip(NEXT) | instid1(VALU_DEP_3)
	v_add_co_u32 v30, vcc_lo, s12, v30
	v_add_co_ci_u32_e32 v31, vcc_lo, s13, v31, vcc_lo
	s_delay_alu instid0(VALU_DEP_3) | instskip(NEXT) | instid1(VALU_DEP_4)
	v_add_co_u32 v32, vcc_lo, s8, v9
	v_add_co_ci_u32_e32 v33, vcc_lo, s9, v10, vcc_lo
	global_load_b64 v[38:39], v[30:31], off
	v_add_co_u32 v36, vcc_lo, s2, v9
	v_add_co_ci_u32_e32 v37, vcc_lo, s3, v10, vcc_lo
	s_waitcnt vmcnt(1)
	v_fma_f64 v[14:15], -v[26:27], v[12:13], v[15:16]
	v_fma_f64 v[16:17], v[42:43], v[18:19], v[28:29]
	global_load_b64 v[28:29], v[32:33], off
	v_add_co_u32 v40, vcc_lo, s10, v9
	v_add_co_ci_u32_e32 v41, vcc_lo, s11, v10, vcc_lo
	v_add_co_u32 v9, vcc_lo, s6, v9
	global_store_b64 v[34:35], v[4:5], off
	global_load_b64 v[32:33], v[36:37], off
	v_add_co_ci_u32_e32 v10, vcc_lo, s7, v10, vcc_lo
	s_clause 0x1
	global_store_b64 v[6:7], v[16:17], off
	global_store_b64 v[2:3], v[14:15], off
	global_load_b64 v[2:3], v[40:41], off
	global_load_b64 v[6:7], v[24:25], off
	;; [unrolled: 1-line block ×3, first 2 shown]
	s_waitcnt vmcnt(3)
	v_fma_f64 v[4:5], -v[4:5], v[28:29], v[32:33]
	s_waitcnt vmcnt(1)
	s_delay_alu instid0(VALU_DEP_1) | instskip(SKIP_1) | instid1(VALU_DEP_1)
	v_fma_f64 v[2:3], -v[2:3], v[6:7], v[4:5]
	s_waitcnt vmcnt(0)
	v_div_scale_f64 v[4:5], null, v[9:10], v[9:10], v[2:3]
	v_div_scale_f64 v[16:17], vcc_lo, v[2:3], v[9:10], v[2:3]
	s_delay_alu instid0(VALU_DEP_2) | instskip(SKIP_2) | instid1(VALU_DEP_1)
	v_rcp_f64_e32 v[6:7], v[4:5]
	s_waitcnt_depctr 0xfff
	v_fma_f64 v[14:15], -v[4:5], v[6:7], 1.0
	v_fma_f64 v[6:7], v[6:7], v[14:15], v[6:7]
	s_delay_alu instid0(VALU_DEP_1) | instskip(NEXT) | instid1(VALU_DEP_1)
	v_fma_f64 v[14:15], -v[4:5], v[6:7], 1.0
	v_fma_f64 v[6:7], v[6:7], v[14:15], v[6:7]
	s_delay_alu instid0(VALU_DEP_1) | instskip(NEXT) | instid1(VALU_DEP_1)
	v_mul_f64 v[14:15], v[16:17], v[6:7]
	v_fma_f64 v[4:5], -v[4:5], v[14:15], v[16:17]
	s_delay_alu instid0(VALU_DEP_1) | instskip(SKIP_2) | instid1(VALU_DEP_3)
	v_div_fmas_f64 v[4:5], v[4:5], v[6:7], v[14:15]
	v_mul_f64 v[14:15], v[12:13], v[44:45]
	v_mul_f64 v[11:12], v[12:13], v[38:39]
	v_div_fixup_f64 v[2:3], v[4:5], v[9:10], v[2:3]
	v_add_nc_u32_e32 v4, s0, v1
	s_delay_alu instid0(VALU_DEP_4) | instskip(SKIP_1) | instid1(VALU_DEP_3)
	v_fma_f64 v[14:15], v[26:27], v[18:19], v[14:15]
	v_mul_f64 v[18:19], v[18:19], v[38:39]
	v_ashrrev_i32_e32 v5, 31, v4
	s_delay_alu instid0(VALU_DEP_1) | instskip(NEXT) | instid1(VALU_DEP_1)
	v_lshlrev_b64 v[4:5], 3, v[4:5]
	v_add_co_u32 v6, vcc_lo, s8, v4
	s_delay_alu instid0(VALU_DEP_2)
	v_add_co_ci_u32_e32 v7, vcc_lo, s9, v5, vcc_lo
	v_add_co_u32 v9, vcc_lo, s2, v4
	v_add_co_ci_u32_e32 v10, vcc_lo, s3, v5, vcc_lo
	global_load_b64 v[6:7], v[6:7], off
	v_add_co_u32 v28, vcc_lo, s10, v4
	v_add_co_ci_u32_e32 v29, vcc_lo, s11, v5, vcc_lo
	v_mad_u64_u32 v[32:33], null, s17, -3, v[8:9]
	global_store_b64 v[36:37], v[2:3], off
	global_load_b64 v[16:17], v[9:10], off
	global_load_b64 v[26:27], v[28:29], off
	;; [unrolled: 1-line block ×3, first 2 shown]
	v_ashrrev_i32_e32 v33, 31, v32
	s_clause 0x1
	global_store_b64 v[22:23], v[14:15], off
	global_store_b64 v[30:31], v[18:19], off
	v_lshlrev_b64 v[32:33], 3, v[32:33]
	s_delay_alu instid0(VALU_DEP_1) | instskip(NEXT) | instid1(VALU_DEP_2)
	v_add_co_u32 v32, vcc_lo, s12, v32
	v_add_co_ci_u32_e32 v33, vcc_lo, s13, v33, vcc_lo
	global_load_b64 v[14:15], v[32:33], off
	global_load_b64 v[18:19], v[24:25], off
	v_add_co_u32 v4, vcc_lo, s6, v4
	v_add_co_ci_u32_e32 v5, vcc_lo, s7, v5, vcc_lo
	global_load_b64 v[4:5], v[4:5], off
	s_waitcnt vmcnt(5)
	v_fma_f64 v[1:2], -v[2:3], v[6:7], v[16:17]
	s_waitcnt vmcnt(3)
	s_delay_alu instid0(VALU_DEP_1) | instskip(SKIP_1) | instid1(VALU_DEP_1)
	v_fma_f64 v[1:2], -v[26:27], v[28:29], v[1:2]
	s_waitcnt vmcnt(1)
	v_fma_f64 v[1:2], -v[14:15], v[18:19], v[1:2]
	s_waitcnt vmcnt(0)
	s_delay_alu instid0(VALU_DEP_1) | instskip(NEXT) | instid1(VALU_DEP_1)
	v_div_scale_f64 v[6:7], null, v[4:5], v[4:5], v[1:2]
	v_rcp_f64_e32 v[14:15], v[6:7]
	s_waitcnt_depctr 0xfff
	v_fma_f64 v[16:17], -v[6:7], v[14:15], 1.0
	s_delay_alu instid0(VALU_DEP_1) | instskip(NEXT) | instid1(VALU_DEP_1)
	v_fma_f64 v[14:15], v[14:15], v[16:17], v[14:15]
	v_fma_f64 v[16:17], -v[6:7], v[14:15], 1.0
	s_delay_alu instid0(VALU_DEP_1) | instskip(SKIP_1) | instid1(VALU_DEP_1)
	v_fma_f64 v[14:15], v[14:15], v[16:17], v[14:15]
	v_div_scale_f64 v[16:17], vcc_lo, v[1:2], v[4:5], v[1:2]
	v_mul_f64 v[18:19], v[16:17], v[14:15]
	s_delay_alu instid0(VALU_DEP_1) | instskip(NEXT) | instid1(VALU_DEP_1)
	v_fma_f64 v[6:7], -v[6:7], v[18:19], v[16:17]
	v_div_fmas_f64 v[6:7], v[6:7], v[14:15], v[18:19]
	v_add_co_u32 v3, vcc_lo, s14, v20
	s_delay_alu instid0(VALU_DEP_2)
	v_div_fixup_f64 v[1:2], v[6:7], v[4:5], v[1:2]
	v_add_co_ci_u32_e32 v4, vcc_lo, s15, v21, vcc_lo
	global_store_b64 v[3:4], v[11:12], off
	global_store_b64 v[9:10], v[1:2], off
	s_cbranch_scc1 .LBB5_7
; %bb.5:
	s_add_i32 s4, s16, -5
	s_add_i32 s0, s16, -4
	v_mad_u64_u32 v[1:2], null, s17, s4, v[0:1]
	s_add_i32 s5, s16, -3
	s_delay_alu instid0(VALU_DEP_1)
	v_mad_u64_u32 v[2:3], null, s18, s0, v[0:1]
	v_mad_u64_u32 v[3:4], null, s18, s5, v[0:1]
	;; [unrolled: 1-line block ×4, first 2 shown]
	v_add_nc_u32_e32 v0, s1, v0
.LBB5_6:                                ; =>This Inner Loop Header: Depth=1
	s_delay_alu instid0(VALU_DEP_2)
	v_add_nc_u32_e32 v6, s19, v5
	v_add_nc_u32_e32 v8, s19, v2
	v_add_nc_u32_e32 v16, s19, v3
	v_add_nc_u32_e32 v20, s19, v1
	v_add_nc_u32_e32 v22, s19, v4
	v_ashrrev_i32_e32 v7, 31, v6
	v_ashrrev_i32_e32 v9, 31, v8
	;; [unrolled: 1-line block ×5, first 2 shown]
	v_lshlrev_b64 v[6:7], 3, v[6:7]
	v_lshlrev_b64 v[8:9], 3, v[8:9]
	;; [unrolled: 1-line block ×5, first 2 shown]
	v_add_nc_u32_e32 v26, s19, v0
	v_add_co_u32 v10, vcc_lo, s2, v6
	v_add_co_ci_u32_e32 v11, vcc_lo, s3, v7, vcc_lo
	v_add_co_u32 v12, vcc_lo, s8, v6
	v_add_co_ci_u32_e32 v13, vcc_lo, s9, v7, vcc_lo
	v_add_co_u32 v8, vcc_lo, s2, v8
	v_add_co_ci_u32_e32 v9, vcc_lo, s3, v9, vcc_lo
	global_load_b64 v[14:15], v[10:11], off
	global_load_b64 v[12:13], v[12:13], off
	;; [unrolled: 1-line block ×3, first 2 shown]
	v_add_co_u32 v18, vcc_lo, s10, v6
	v_add_co_ci_u32_e32 v19, vcc_lo, s11, v7, vcc_lo
	v_add_co_u32 v16, vcc_lo, s2, v16
	v_add_co_ci_u32_e32 v17, vcc_lo, s3, v17, vcc_lo
	global_load_b64 v[18:19], v[18:19], off
	global_load_b64 v[16:17], v[16:17], off
	v_add_co_u32 v24, vcc_lo, s12, v20
	v_add_co_ci_u32_e32 v25, vcc_lo, s13, v21, vcc_lo
	v_add_co_u32 v22, vcc_lo, s2, v22
	v_add_co_ci_u32_e32 v23, vcc_lo, s3, v23, vcc_lo
	global_load_b64 v[24:25], v[24:25], off
	global_load_b64 v[22:23], v[22:23], off
	v_ashrrev_i32_e32 v27, 31, v26
	v_add_co_u32 v20, vcc_lo, s14, v20
	v_add_co_ci_u32_e32 v21, vcc_lo, s15, v21, vcc_lo
	s_delay_alu instid0(VALU_DEP_3)
	v_lshlrev_b64 v[26:27], 3, v[26:27]
	v_subrev_nc_u32_e32 v1, s17, v1
	v_subrev_nc_u32_e32 v2, s18, v2
	;; [unrolled: 1-line block ×5, first 2 shown]
	v_add_co_u32 v26, vcc_lo, s2, v26
	v_add_co_ci_u32_e32 v27, vcc_lo, s3, v27, vcc_lo
	global_load_b64 v[20:21], v[20:21], off
	global_load_b64 v[26:27], v[26:27], off
	v_add_co_u32 v6, vcc_lo, s6, v6
	v_add_co_ci_u32_e32 v7, vcc_lo, s7, v7, vcc_lo
	v_subrev_nc_u32_e32 v5, s18, v5
	s_add_i32 s0, s0, -1
	global_load_b64 v[6:7], v[6:7], off
	s_cmp_lg_u32 s0, 0
	s_waitcnt vmcnt(7)
	v_fma_f64 v[8:9], -v[12:13], v[8:9], v[14:15]
	s_waitcnt vmcnt(5)
	s_delay_alu instid0(VALU_DEP_1) | instskip(SKIP_1) | instid1(VALU_DEP_1)
	v_fma_f64 v[8:9], -v[18:19], v[16:17], v[8:9]
	s_waitcnt vmcnt(3)
	v_fma_f64 v[8:9], -v[24:25], v[22:23], v[8:9]
	s_waitcnt vmcnt(1)
	s_delay_alu instid0(VALU_DEP_1) | instskip(SKIP_1) | instid1(VALU_DEP_1)
	v_fma_f64 v[8:9], -v[20:21], v[26:27], v[8:9]
	s_waitcnt vmcnt(0)
	v_div_scale_f64 v[12:13], null, v[6:7], v[6:7], v[8:9]
	v_div_scale_f64 v[18:19], vcc_lo, v[8:9], v[6:7], v[8:9]
	s_delay_alu instid0(VALU_DEP_2) | instskip(SKIP_2) | instid1(VALU_DEP_1)
	v_rcp_f64_e32 v[14:15], v[12:13]
	s_waitcnt_depctr 0xfff
	v_fma_f64 v[16:17], -v[12:13], v[14:15], 1.0
	v_fma_f64 v[14:15], v[14:15], v[16:17], v[14:15]
	s_delay_alu instid0(VALU_DEP_1) | instskip(NEXT) | instid1(VALU_DEP_1)
	v_fma_f64 v[16:17], -v[12:13], v[14:15], 1.0
	v_fma_f64 v[14:15], v[14:15], v[16:17], v[14:15]
	s_delay_alu instid0(VALU_DEP_1) | instskip(NEXT) | instid1(VALU_DEP_1)
	v_mul_f64 v[16:17], v[18:19], v[14:15]
	v_fma_f64 v[12:13], -v[12:13], v[16:17], v[18:19]
	s_delay_alu instid0(VALU_DEP_1) | instskip(NEXT) | instid1(VALU_DEP_1)
	v_div_fmas_f64 v[12:13], v[12:13], v[14:15], v[16:17]
	v_div_fixup_f64 v[6:7], v[12:13], v[6:7], v[8:9]
	global_store_b64 v[10:11], v[6:7], off
	s_cbranch_scc1 .LBB5_6
.LBB5_7:
	s_nop 0
	s_sendmsg sendmsg(MSG_DEALLOC_VGPRS)
	s_endpgm
	.section	.rodata,"a",@progbits
	.p2align	6, 0x0
	.amdhsa_kernel _ZN9rocsparseL39gpsv_interleaved_batch_givens_qr_kernelILj128EdEEviiiPT0_S2_S2_S2_S2_S2_S2_S2_
		.amdhsa_group_segment_fixed_size 0
		.amdhsa_private_segment_fixed_size 0
		.amdhsa_kernarg_size 80
		.amdhsa_user_sgpr_count 15
		.amdhsa_user_sgpr_dispatch_ptr 0
		.amdhsa_user_sgpr_queue_ptr 0
		.amdhsa_user_sgpr_kernarg_segment_ptr 1
		.amdhsa_user_sgpr_dispatch_id 0
		.amdhsa_user_sgpr_private_segment_size 0
		.amdhsa_wavefront_size32 1
		.amdhsa_uses_dynamic_stack 0
		.amdhsa_enable_private_segment 0
		.amdhsa_system_sgpr_workgroup_id_x 1
		.amdhsa_system_sgpr_workgroup_id_y 0
		.amdhsa_system_sgpr_workgroup_id_z 0
		.amdhsa_system_sgpr_workgroup_info 0
		.amdhsa_system_vgpr_workitem_id 0
		.amdhsa_next_free_vgpr 80
		.amdhsa_next_free_sgpr 24
		.amdhsa_reserve_vcc 1
		.amdhsa_float_round_mode_32 0
		.amdhsa_float_round_mode_16_64 0
		.amdhsa_float_denorm_mode_32 3
		.amdhsa_float_denorm_mode_16_64 3
		.amdhsa_dx10_clamp 1
		.amdhsa_ieee_mode 1
		.amdhsa_fp16_overflow 0
		.amdhsa_workgroup_processor_mode 1
		.amdhsa_memory_ordered 1
		.amdhsa_forward_progress 0
		.amdhsa_shared_vgpr_count 0
		.amdhsa_exception_fp_ieee_invalid_op 0
		.amdhsa_exception_fp_denorm_src 0
		.amdhsa_exception_fp_ieee_div_zero 0
		.amdhsa_exception_fp_ieee_overflow 0
		.amdhsa_exception_fp_ieee_underflow 0
		.amdhsa_exception_fp_ieee_inexact 0
		.amdhsa_exception_int_div_zero 0
	.end_amdhsa_kernel
	.section	.text._ZN9rocsparseL39gpsv_interleaved_batch_givens_qr_kernelILj128EdEEviiiPT0_S2_S2_S2_S2_S2_S2_S2_,"axG",@progbits,_ZN9rocsparseL39gpsv_interleaved_batch_givens_qr_kernelILj128EdEEviiiPT0_S2_S2_S2_S2_S2_S2_S2_,comdat
.Lfunc_end5:
	.size	_ZN9rocsparseL39gpsv_interleaved_batch_givens_qr_kernelILj128EdEEviiiPT0_S2_S2_S2_S2_S2_S2_S2_, .Lfunc_end5-_ZN9rocsparseL39gpsv_interleaved_batch_givens_qr_kernelILj128EdEEviiiPT0_S2_S2_S2_S2_S2_S2_S2_
                                        ; -- End function
	.section	.AMDGPU.csdata,"",@progbits
; Kernel info:
; codeLenInByte = 4484
; NumSgprs: 26
; NumVgprs: 80
; ScratchSize: 0
; MemoryBound: 0
; FloatMode: 240
; IeeeMode: 1
; LDSByteSize: 0 bytes/workgroup (compile time only)
; SGPRBlocks: 3
; VGPRBlocks: 9
; NumSGPRsForWavesPerEU: 26
; NumVGPRsForWavesPerEU: 80
; Occupancy: 16
; WaveLimiterHint : 0
; COMPUTE_PGM_RSRC2:SCRATCH_EN: 0
; COMPUTE_PGM_RSRC2:USER_SGPR: 15
; COMPUTE_PGM_RSRC2:TRAP_HANDLER: 0
; COMPUTE_PGM_RSRC2:TGID_X_EN: 1
; COMPUTE_PGM_RSRC2:TGID_Y_EN: 0
; COMPUTE_PGM_RSRC2:TGID_Z_EN: 0
; COMPUTE_PGM_RSRC2:TIDIG_COMP_CNT: 0
	.section	.text._ZN9rocsparseL19gpsv_strided_gatherILj256E21rocsparse_complex_numIfEEEviiiPKT0_PS3_,"axG",@progbits,_ZN9rocsparseL19gpsv_strided_gatherILj256E21rocsparse_complex_numIfEEEviiiPKT0_PS3_,comdat
	.globl	_ZN9rocsparseL19gpsv_strided_gatherILj256E21rocsparse_complex_numIfEEEviiiPKT0_PS3_ ; -- Begin function _ZN9rocsparseL19gpsv_strided_gatherILj256E21rocsparse_complex_numIfEEEviiiPKT0_PS3_
	.p2align	8
	.type	_ZN9rocsparseL19gpsv_strided_gatherILj256E21rocsparse_complex_numIfEEEviiiPKT0_PS3_,@function
_ZN9rocsparseL19gpsv_strided_gatherILj256E21rocsparse_complex_numIfEEEviiiPKT0_PS3_: ; @_ZN9rocsparseL19gpsv_strided_gatherILj256E21rocsparse_complex_numIfEEEviiiPKT0_PS3_
; %bb.0:
	s_clause 0x1
	s_load_b32 s2, s[0:1], 0x2c
	s_load_b128 s[4:7], s[0:1], 0x0
	s_waitcnt lgkmcnt(0)
	s_and_b32 s2, s2, 0xffff
	s_cmp_gt_i32 s4, 0
	v_mad_u64_u32 v[1:2], null, s15, s2, v[0:1]
	s_cselect_b32 s2, -1, 0
	s_delay_alu instid0(VALU_DEP_1) | instskip(SKIP_1) | instid1(SALU_CYCLE_1)
	v_cmp_gt_i32_e32 vcc_lo, s5, v1
	s_and_b32 s2, vcc_lo, s2
	s_and_saveexec_b32 s3, s2
	s_cbranch_execz .LBB6_3
; %bb.1:
	s_load_b128 s[0:3], s[0:1], 0x10
	v_mov_b32_e32 v3, v1
	.p2align	6
.LBB6_2:                                ; =>This Inner Loop Header: Depth=1
	v_ashrrev_i32_e32 v2, 31, v1
	s_add_i32 s4, s4, -1
	s_delay_alu instid0(SALU_CYCLE_1) | instskip(NEXT) | instid1(VALU_DEP_1)
	s_cmp_lg_u32 s4, 0
	v_lshlrev_b64 v[4:5], 3, v[1:2]
	v_add_nc_u32_e32 v1, s6, v1
	s_waitcnt lgkmcnt(0)
	s_delay_alu instid0(VALU_DEP_2) | instskip(NEXT) | instid1(VALU_DEP_3)
	v_add_co_u32 v4, vcc_lo, s0, v4
	v_add_co_ci_u32_e32 v5, vcc_lo, s1, v5, vcc_lo
	global_load_b64 v[5:6], v[4:5], off
	v_ashrrev_i32_e32 v4, 31, v3
	s_delay_alu instid0(VALU_DEP_1) | instskip(SKIP_1) | instid1(VALU_DEP_2)
	v_lshlrev_b64 v[7:8], 3, v[3:4]
	v_add_nc_u32_e32 v3, s5, v3
	v_add_co_u32 v7, vcc_lo, s2, v7
	s_delay_alu instid0(VALU_DEP_3)
	v_add_co_ci_u32_e32 v8, vcc_lo, s3, v8, vcc_lo
	s_waitcnt vmcnt(0)
	global_store_b64 v[7:8], v[5:6], off
	s_cbranch_scc1 .LBB6_2
.LBB6_3:
	s_nop 0
	s_sendmsg sendmsg(MSG_DEALLOC_VGPRS)
	s_endpgm
	.section	.rodata,"a",@progbits
	.p2align	6, 0x0
	.amdhsa_kernel _ZN9rocsparseL19gpsv_strided_gatherILj256E21rocsparse_complex_numIfEEEviiiPKT0_PS3_
		.amdhsa_group_segment_fixed_size 0
		.amdhsa_private_segment_fixed_size 0
		.amdhsa_kernarg_size 288
		.amdhsa_user_sgpr_count 15
		.amdhsa_user_sgpr_dispatch_ptr 0
		.amdhsa_user_sgpr_queue_ptr 0
		.amdhsa_user_sgpr_kernarg_segment_ptr 1
		.amdhsa_user_sgpr_dispatch_id 0
		.amdhsa_user_sgpr_private_segment_size 0
		.amdhsa_wavefront_size32 1
		.amdhsa_uses_dynamic_stack 0
		.amdhsa_enable_private_segment 0
		.amdhsa_system_sgpr_workgroup_id_x 1
		.amdhsa_system_sgpr_workgroup_id_y 0
		.amdhsa_system_sgpr_workgroup_id_z 0
		.amdhsa_system_sgpr_workgroup_info 0
		.amdhsa_system_vgpr_workitem_id 0
		.amdhsa_next_free_vgpr 9
		.amdhsa_next_free_sgpr 16
		.amdhsa_reserve_vcc 1
		.amdhsa_float_round_mode_32 0
		.amdhsa_float_round_mode_16_64 0
		.amdhsa_float_denorm_mode_32 3
		.amdhsa_float_denorm_mode_16_64 3
		.amdhsa_dx10_clamp 1
		.amdhsa_ieee_mode 1
		.amdhsa_fp16_overflow 0
		.amdhsa_workgroup_processor_mode 1
		.amdhsa_memory_ordered 1
		.amdhsa_forward_progress 0
		.amdhsa_shared_vgpr_count 0
		.amdhsa_exception_fp_ieee_invalid_op 0
		.amdhsa_exception_fp_denorm_src 0
		.amdhsa_exception_fp_ieee_div_zero 0
		.amdhsa_exception_fp_ieee_overflow 0
		.amdhsa_exception_fp_ieee_underflow 0
		.amdhsa_exception_fp_ieee_inexact 0
		.amdhsa_exception_int_div_zero 0
	.end_amdhsa_kernel
	.section	.text._ZN9rocsparseL19gpsv_strided_gatherILj256E21rocsparse_complex_numIfEEEviiiPKT0_PS3_,"axG",@progbits,_ZN9rocsparseL19gpsv_strided_gatherILj256E21rocsparse_complex_numIfEEEviiiPKT0_PS3_,comdat
.Lfunc_end6:
	.size	_ZN9rocsparseL19gpsv_strided_gatherILj256E21rocsparse_complex_numIfEEEviiiPKT0_PS3_, .Lfunc_end6-_ZN9rocsparseL19gpsv_strided_gatherILj256E21rocsparse_complex_numIfEEEviiiPKT0_PS3_
                                        ; -- End function
	.section	.AMDGPU.csdata,"",@progbits
; Kernel info:
; codeLenInByte = 200
; NumSgprs: 18
; NumVgprs: 9
; ScratchSize: 0
; MemoryBound: 0
; FloatMode: 240
; IeeeMode: 1
; LDSByteSize: 0 bytes/workgroup (compile time only)
; SGPRBlocks: 2
; VGPRBlocks: 1
; NumSGPRsForWavesPerEU: 18
; NumVGPRsForWavesPerEU: 9
; Occupancy: 16
; WaveLimiterHint : 0
; COMPUTE_PGM_RSRC2:SCRATCH_EN: 0
; COMPUTE_PGM_RSRC2:USER_SGPR: 15
; COMPUTE_PGM_RSRC2:TRAP_HANDLER: 0
; COMPUTE_PGM_RSRC2:TGID_X_EN: 1
; COMPUTE_PGM_RSRC2:TGID_Y_EN: 0
; COMPUTE_PGM_RSRC2:TGID_Z_EN: 0
; COMPUTE_PGM_RSRC2:TIDIG_COMP_CNT: 0
	.section	.text._ZN9rocsparseL44gpsv_interleaved_batch_householder_qr_kernelILj256E21rocsparse_complex_numIfEEEviiiPT0_S4_S4_S4_S4_S4_S4_S4_S4_,"axG",@progbits,_ZN9rocsparseL44gpsv_interleaved_batch_householder_qr_kernelILj256E21rocsparse_complex_numIfEEEviiiPT0_S4_S4_S4_S4_S4_S4_S4_S4_,comdat
	.globl	_ZN9rocsparseL44gpsv_interleaved_batch_householder_qr_kernelILj256E21rocsparse_complex_numIfEEEviiiPT0_S4_S4_S4_S4_S4_S4_S4_S4_ ; -- Begin function _ZN9rocsparseL44gpsv_interleaved_batch_householder_qr_kernelILj256E21rocsparse_complex_numIfEEEviiiPT0_S4_S4_S4_S4_S4_S4_S4_S4_
	.p2align	8
	.type	_ZN9rocsparseL44gpsv_interleaved_batch_householder_qr_kernelILj256E21rocsparse_complex_numIfEEEviiiPT0_S4_S4_S4_S4_S4_S4_S4_S4_,@function
_ZN9rocsparseL44gpsv_interleaved_batch_householder_qr_kernelILj256E21rocsparse_complex_numIfEEEviiiPT0_S4_S4_S4_S4_S4_S4_S4_S4_: ; @_ZN9rocsparseL44gpsv_interleaved_batch_householder_qr_kernelILj256E21rocsparse_complex_numIfEEEviiiPT0_S4_S4_S4_S4_S4_S4_S4_S4_
; %bb.0:
	s_clause 0x1
	s_load_b32 s2, s[0:1], 0x64
	s_load_b128 s[8:11], s[0:1], 0x0
	s_waitcnt lgkmcnt(0)
	s_and_b32 s2, s2, 0xffff
	s_delay_alu instid0(SALU_CYCLE_1) | instskip(SKIP_2) | instid1(VALU_DEP_1)
	s_mul_i32 s5, s15, s2
	s_mov_b32 s2, exec_lo
	v_add_nc_u32_e32 v1, s5, v0
	v_cmpx_gt_i32_e64 s9, v1
	s_cbranch_execz .LBB7_28
; %bb.1:
	s_clause 0x3
	s_load_b64 s[6:7], s[0:1], 0x50
	s_load_b128 s[12:15], s[0:1], 0x40
	s_load_b128 s[16:19], s[0:1], 0x20
	s_load_b64 s[24:25], s[0:1], 0x30
	s_add_i32 s11, s8, -1
	s_cmp_lt_i32 s8, 2
	s_cbranch_scc1 .LBB7_15
; %bb.2:
	s_load_b128 s[20:23], s[0:1], 0x10
	v_dual_mov_b32 v50, v0 :: v_dual_add_nc_u32 v45, s9, v0
	v_lshl_add_u32 v46, s9, 1, v0
	v_add_nc_u32_e32 v47, s10, v0
	v_lshl_add_u32 v48, s10, 1, v0
	v_mov_b32_e32 v49, v0
	s_mov_b32 s26, s11
	s_branch .LBB7_4
.LBB7_3:                                ;   in Loop: Header=BB7_4 Depth=1
	s_or_b32 exec_lo, exec_lo, s27
	v_add_nc_u32_e32 v45, s9, v45
	v_add_nc_u32_e32 v46, s9, v46
	;; [unrolled: 1-line block ×6, first 2 shown]
	s_add_i32 s26, s26, -1
	s_delay_alu instid0(SALU_CYCLE_1)
	s_cmp_eq_u32 s26, 0
	s_cbranch_scc1 .LBB7_15
.LBB7_4:                                ; =>This Inner Loop Header: Depth=1
	s_waitcnt vmcnt(0)
	v_dual_mov_b32 v12, 0 :: v_dual_add_nc_u32 v3, s5, v45
	v_add_nc_u32_e32 v1, s5, v47
	v_dual_mov_b32 v22, 0 :: v_dual_add_nc_u32 v5, s5, v48
	s_delay_alu instid0(VALU_DEP_3) | instskip(SKIP_3) | instid1(VALU_DEP_4)
	v_ashrrev_i32_e32 v4, 31, v3
	v_dual_mov_b32 v11, 0 :: v_dual_mov_b32 v36, 0
	v_mov_b32_e32 v21, 0
	v_mov_b32_e32 v27, 0
	v_lshlrev_b64 v[41:42], 3, v[3:4]
	v_mov_b32_e32 v4, 0
	v_ashrrev_i32_e32 v2, 31, v1
	v_dual_mov_b32 v3, 0 :: v_dual_mov_b32 v30, 0
	v_mov_b32_e32 v29, 0
	v_mov_b32_e32 v35, 0
	s_delay_alu instid0(VALU_DEP_4)
	v_lshlrev_b64 v[1:2], 3, v[1:2]
	s_cmp_lg_u32 s26, 1
	v_mov_b32_e32 v28, 0
	s_cselect_b32 s28, -1, 0
	s_cmp_eq_u32 s26, 1
	s_waitcnt lgkmcnt(0)
	v_add_co_u32 v31, vcc_lo, s22, v1
	v_add_co_ci_u32_e32 v32, vcc_lo, s23, v2, vcc_lo
	v_add_co_u32 v15, vcc_lo, s16, v1
	v_add_co_ci_u32_e32 v16, vcc_lo, s17, v2, vcc_lo
	;; [unrolled: 2-line block ×5, first 2 shown]
	global_load_b64 v[33:34], v[31:32], off
	global_load_b64 v[25:26], v[15:16], off
	;; [unrolled: 1-line block ×5, first 2 shown]
	v_add_nc_u32_e32 v1, s5, v46
	s_cbranch_scc1 .LBB7_6
; %bb.5:                                ;   in Loop: Header=BB7_4 Depth=1
	v_ashrrev_i32_e32 v6, 31, v5
	s_delay_alu instid0(VALU_DEP_2) | instskip(NEXT) | instid1(VALU_DEP_2)
	v_ashrrev_i32_e32 v2, 31, v1
	v_lshlrev_b64 v[3:4], 3, v[5:6]
	s_delay_alu instid0(VALU_DEP_2) | instskip(NEXT) | instid1(VALU_DEP_2)
	v_lshlrev_b64 v[29:30], 3, v[1:2]
	v_add_co_u32 v11, vcc_lo, s20, v3
	s_delay_alu instid0(VALU_DEP_3)
	v_add_co_ci_u32_e32 v12, vcc_lo, s21, v4, vcc_lo
	v_add_co_u32 v21, vcc_lo, s22, v3
	v_add_co_ci_u32_e32 v22, vcc_lo, s23, v4, vcc_lo
	v_add_co_u32 v27, vcc_lo, s16, v3
	v_add_co_ci_u32_e32 v28, vcc_lo, s17, v4, vcc_lo
	global_load_b64 v[35:36], v[11:12], off
	v_add_co_u32 v11, vcc_lo, s18, v3
	v_add_co_ci_u32_e32 v12, vcc_lo, s19, v4, vcc_lo
	v_add_co_u32 v2, vcc_lo, s24, v3
	v_add_co_ci_u32_e32 v3, vcc_lo, s25, v4, vcc_lo
	;; [unrolled: 2-line block ×3, first 2 shown]
	global_load_b64 v[29:30], v[21:22], off
	global_load_b64 v[27:28], v[27:28], off
	;; [unrolled: 1-line block ×5, first 2 shown]
.LBB7_6:                                ;   in Loop: Header=BB7_4 Depth=1
	s_waitcnt vmcnt(5)
	v_mul_f32_e64 v2, v36, -v36
	v_mul_f32_e32 v6, v35, v36
	s_delay_alu instid0(VALU_DEP_2) | instskip(NEXT) | instid1(VALU_DEP_2)
	v_fmac_f32_e32 v2, v35, v35
	v_fmac_f32_e32 v6, v36, v35
	s_waitcnt vmcnt(4)
	s_delay_alu instid0(VALU_DEP_2) | instskip(NEXT) | instid1(VALU_DEP_2)
	v_fmac_f32_e32 v2, v33, v33
	v_fmac_f32_e32 v6, v34, v33
	s_delay_alu instid0(VALU_DEP_2) | instskip(NEXT) | instid1(VALU_DEP_2)
	v_fma_f32 v2, -v34, v34, v2
	v_fmac_f32_e32 v6, v33, v34
	s_delay_alu instid0(VALU_DEP_2) | instskip(NEXT) | instid1(VALU_DEP_2)
	v_cmp_neq_f32_e32 vcc_lo, 0, v2
	v_cmp_neq_f32_e64 s2, 0, v6
	s_delay_alu instid0(VALU_DEP_1) | instskip(NEXT) | instid1(SALU_CYCLE_1)
	s_or_b32 s2, vcc_lo, s2
	s_and_saveexec_b32 s27, s2
	s_cbranch_execz .LBB7_3
; %bb.7:                                ;   in Loop: Header=BB7_4 Depth=1
	v_add_nc_u32_e32 v37, s5, v49
                                        ; implicit-def: $vgpr52
	s_mov_b32 s3, exec_lo
	s_delay_alu instid0(VALU_DEP_1) | instskip(NEXT) | instid1(VALU_DEP_1)
	v_ashrrev_i32_e32 v38, 31, v37
	v_lshlrev_b64 v[43:44], 3, v[37:38]
	s_delay_alu instid0(VALU_DEP_1) | instskip(NEXT) | instid1(VALU_DEP_2)
	v_add_co_u32 v37, vcc_lo, s16, v43
	v_add_co_ci_u32_e32 v38, vcc_lo, s17, v44, vcc_lo
	global_load_b64 v[39:40], v[37:38], off
	s_waitcnt vmcnt(0)
	v_fma_f32 v51, v39, v39, v2
	v_fma_f32 v55, v40, v39, v6
	s_delay_alu instid0(VALU_DEP_2) | instskip(NEXT) | instid1(VALU_DEP_2)
	v_fma_f32 v51, -v40, v40, v51
	v_fmac_f32_e32 v55, v39, v40
	s_delay_alu instid0(VALU_DEP_2) | instskip(NEXT) | instid1(VALU_DEP_2)
	v_cmp_gt_f32_e32 vcc_lo, 0, v51
	v_cmp_gt_f32_e64 s2, 0, v55
	v_cndmask_b32_e64 v53, v51, -v51, vcc_lo
	s_delay_alu instid0(VALU_DEP_2) | instskip(NEXT) | instid1(VALU_DEP_1)
	v_cndmask_b32_e64 v54, v55, -v55, s2
	v_cmpx_ngt_f32_e32 v53, v54
	s_xor_b32 s4, exec_lo, s3
	s_cbranch_execz .LBB7_11
; %bb.8:                                ;   in Loop: Header=BB7_4 Depth=1
	v_mov_b32_e32 v52, 0
	s_mov_b32 s29, exec_lo
	v_cmpx_neq_f32_e32 0, v55
	s_cbranch_execz .LBB7_10
; %bb.9:                                ;   in Loop: Header=BB7_4 Depth=1
	v_div_scale_f32 v52, null, v54, v54, v53
	v_div_scale_f32 v57, vcc_lo, v53, v54, v53
	s_delay_alu instid0(VALU_DEP_2) | instskip(SKIP_2) | instid1(VALU_DEP_1)
	v_rcp_f32_e32 v55, v52
	s_waitcnt_depctr 0xfff
	v_fma_f32 v56, -v52, v55, 1.0
	v_fmac_f32_e32 v55, v56, v55
	s_delay_alu instid0(VALU_DEP_1) | instskip(NEXT) | instid1(VALU_DEP_1)
	v_mul_f32_e32 v56, v57, v55
	v_fma_f32 v58, -v52, v56, v57
	s_delay_alu instid0(VALU_DEP_1) | instskip(NEXT) | instid1(VALU_DEP_1)
	v_fmac_f32_e32 v56, v58, v55
	v_fma_f32 v52, -v52, v56, v57
	s_delay_alu instid0(VALU_DEP_1) | instskip(NEXT) | instid1(VALU_DEP_1)
	v_div_fmas_f32 v52, v52, v55, v56
	v_div_fixup_f32 v52, v52, v54, v53
	s_delay_alu instid0(VALU_DEP_1) | instskip(NEXT) | instid1(VALU_DEP_1)
	v_fma_f32 v52, v52, v52, 1.0
	v_mul_f32_e32 v53, 0x4f800000, v52
	v_cmp_gt_f32_e32 vcc_lo, 0xf800000, v52
	s_delay_alu instid0(VALU_DEP_2) | instskip(NEXT) | instid1(VALU_DEP_1)
	v_cndmask_b32_e32 v52, v52, v53, vcc_lo
	v_sqrt_f32_e32 v53, v52
	s_waitcnt_depctr 0xfff
	v_add_nc_u32_e32 v55, -1, v53
	v_add_nc_u32_e32 v56, 1, v53
	s_delay_alu instid0(VALU_DEP_2) | instskip(NEXT) | instid1(VALU_DEP_2)
	v_fma_f32 v57, -v55, v53, v52
	v_fma_f32 v58, -v56, v53, v52
	s_delay_alu instid0(VALU_DEP_2) | instskip(NEXT) | instid1(VALU_DEP_1)
	v_cmp_ge_f32_e64 s3, 0, v57
	v_cndmask_b32_e64 v53, v53, v55, s3
	s_delay_alu instid0(VALU_DEP_3) | instskip(NEXT) | instid1(VALU_DEP_1)
	v_cmp_lt_f32_e64 s3, 0, v58
	v_cndmask_b32_e64 v53, v53, v56, s3
	s_delay_alu instid0(VALU_DEP_1) | instskip(NEXT) | instid1(VALU_DEP_1)
	v_mul_f32_e32 v55, 0x37800000, v53
	v_cndmask_b32_e32 v53, v53, v55, vcc_lo
	v_cmp_class_f32_e64 vcc_lo, v52, 0x260
	s_delay_alu instid0(VALU_DEP_2) | instskip(NEXT) | instid1(VALU_DEP_1)
	v_cndmask_b32_e32 v52, v53, v52, vcc_lo
	v_mul_f32_e32 v52, v54, v52
.LBB7_10:                               ;   in Loop: Header=BB7_4 Depth=1
	s_or_b32 exec_lo, exec_lo, s29
                                        ; implicit-def: $vgpr53
                                        ; implicit-def: $vgpr54
.LBB7_11:                               ;   in Loop: Header=BB7_4 Depth=1
	s_and_not1_saveexec_b32 s4, s4
	s_cbranch_execz .LBB7_13
; %bb.12:                               ;   in Loop: Header=BB7_4 Depth=1
	v_div_scale_f32 v52, null, v53, v53, v54
	v_div_scale_f32 v57, vcc_lo, v54, v53, v54
	s_delay_alu instid0(VALU_DEP_2) | instskip(SKIP_2) | instid1(VALU_DEP_1)
	v_rcp_f32_e32 v55, v52
	s_waitcnt_depctr 0xfff
	v_fma_f32 v56, -v52, v55, 1.0
	v_fmac_f32_e32 v55, v56, v55
	s_delay_alu instid0(VALU_DEP_1) | instskip(NEXT) | instid1(VALU_DEP_1)
	v_mul_f32_e32 v56, v57, v55
	v_fma_f32 v58, -v52, v56, v57
	s_delay_alu instid0(VALU_DEP_1) | instskip(NEXT) | instid1(VALU_DEP_1)
	v_fmac_f32_e32 v56, v58, v55
	v_fma_f32 v52, -v52, v56, v57
	s_delay_alu instid0(VALU_DEP_1) | instskip(NEXT) | instid1(VALU_DEP_1)
	v_div_fmas_f32 v52, v52, v55, v56
	v_div_fixup_f32 v52, v52, v53, v54
	s_delay_alu instid0(VALU_DEP_1) | instskip(NEXT) | instid1(VALU_DEP_1)
	v_fma_f32 v52, v52, v52, 1.0
	v_mul_f32_e32 v54, 0x4f800000, v52
	v_cmp_gt_f32_e32 vcc_lo, 0xf800000, v52
	s_delay_alu instid0(VALU_DEP_2) | instskip(NEXT) | instid1(VALU_DEP_1)
	v_cndmask_b32_e32 v52, v52, v54, vcc_lo
	v_sqrt_f32_e32 v54, v52
	s_waitcnt_depctr 0xfff
	v_add_nc_u32_e32 v55, -1, v54
	v_add_nc_u32_e32 v56, 1, v54
	s_delay_alu instid0(VALU_DEP_2) | instskip(NEXT) | instid1(VALU_DEP_2)
	v_fma_f32 v57, -v55, v54, v52
	v_fma_f32 v58, -v56, v54, v52
	s_delay_alu instid0(VALU_DEP_2) | instskip(NEXT) | instid1(VALU_DEP_1)
	v_cmp_ge_f32_e64 s3, 0, v57
	v_cndmask_b32_e64 v54, v54, v55, s3
	s_delay_alu instid0(VALU_DEP_3) | instskip(NEXT) | instid1(VALU_DEP_1)
	v_cmp_lt_f32_e64 s3, 0, v58
	v_cndmask_b32_e64 v54, v54, v56, s3
	s_delay_alu instid0(VALU_DEP_1) | instskip(NEXT) | instid1(VALU_DEP_1)
	v_mul_f32_e32 v55, 0x37800000, v54
	v_cndmask_b32_e32 v54, v54, v55, vcc_lo
	v_cmp_class_f32_e64 vcc_lo, v52, 0x260
	s_delay_alu instid0(VALU_DEP_2) | instskip(NEXT) | instid1(VALU_DEP_1)
	v_cndmask_b32_e32 v52, v54, v52, vcc_lo
	v_mul_f32_e32 v52, v53, v52
.LBB7_13:                               ;   in Loop: Header=BB7_4 Depth=1
	s_or_b32 exec_lo, exec_lo, s4
	s_delay_alu instid0(VALU_DEP_1) | instskip(SKIP_1) | instid1(VALU_DEP_1)
	v_sub_f32_e32 v59, v52, v51
	v_add_f32_e32 v51, v51, v52
	v_mul_f32_e32 v51, 0.5, v51
	s_delay_alu instid0(VALU_DEP_1) | instskip(SKIP_1) | instid1(VALU_DEP_1)
	v_mul_f32_e32 v60, 0x4f800000, v51
	v_cmp_gt_f32_e64 s3, 0xf800000, v51
	v_cndmask_b32_e64 v51, v51, v60, s3
	s_delay_alu instid0(VALU_DEP_1) | instskip(SKIP_4) | instid1(VALU_DEP_3)
	v_sqrt_f32_e32 v60, v51
	s_waitcnt_depctr 0xfff
	v_add_nc_u32_e32 v62, -1, v60
	v_dual_mul_f32 v52, 0.5, v59 :: v_dual_add_nc_u32 v53, s5, v50
	v_add_nc_u32_e32 v65, 1, v60
	v_fma_f32 v66, -v62, v60, v51
	s_delay_alu instid0(VALU_DEP_3) | instskip(NEXT) | instid1(VALU_DEP_4)
	v_ashrrev_i32_e32 v54, 31, v53
	v_mul_f32_e32 v59, 0x4f800000, v52
	s_delay_alu instid0(VALU_DEP_2) | instskip(NEXT) | instid1(VALU_DEP_1)
	v_lshlrev_b64 v[53:54], 3, v[53:54]
	v_add_co_u32 v55, vcc_lo, s12, v53
	s_delay_alu instid0(VALU_DEP_2) | instskip(SKIP_3) | instid1(VALU_DEP_1)
	v_add_co_ci_u32_e32 v56, vcc_lo, s13, v54, vcc_lo
	v_cmp_gt_f32_e32 vcc_lo, 0xf800000, v52
	global_load_b64 v[57:58], v[55:56], off
	v_cndmask_b32_e32 v52, v52, v59, vcc_lo
	v_sqrt_f32_e32 v59, v52
	s_waitcnt_depctr 0xfff
	v_add_nc_u32_e32 v61, -1, v59
	v_add_nc_u32_e32 v63, 1, v59
	s_delay_alu instid0(VALU_DEP_2) | instskip(NEXT) | instid1(VALU_DEP_2)
	v_fma_f32 v64, -v61, v59, v52
	v_fma_f32 v67, -v63, v59, v52
	s_delay_alu instid0(VALU_DEP_2) | instskip(NEXT) | instid1(VALU_DEP_1)
	v_cmp_ge_f32_e64 s4, 0, v64
	v_cndmask_b32_e64 v59, v59, v61, s4
	v_cmp_ge_f32_e64 s4, 0, v66
	v_fma_f32 v61, -v65, v60, v51
	s_delay_alu instid0(VALU_DEP_2) | instskip(SKIP_1) | instid1(VALU_DEP_1)
	v_cndmask_b32_e64 v60, v60, v62, s4
	v_cmp_lt_f32_e64 s4, 0, v67
	v_cndmask_b32_e64 v59, v59, v63, s4
	s_delay_alu instid0(VALU_DEP_4) | instskip(NEXT) | instid1(VALU_DEP_2)
	v_cmp_lt_f32_e64 s4, 0, v61
	v_mul_f32_e32 v61, 0x37800000, v59
	s_delay_alu instid0(VALU_DEP_2) | instskip(NEXT) | instid1(VALU_DEP_1)
	v_cndmask_b32_e64 v60, v60, v65, s4
	v_dual_cndmask_b32 v59, v59, v61 :: v_dual_mul_f32 v62, 0x37800000, v60
	v_cmp_class_f32_e64 vcc_lo, v52, 0x260
	s_delay_alu instid0(VALU_DEP_2) | instskip(NEXT) | instid1(VALU_DEP_3)
	v_cndmask_b32_e64 v60, v60, v62, s3
	v_cndmask_b32_e32 v52, v59, v52, vcc_lo
	v_cmp_class_f32_e64 vcc_lo, v51, 0x260
	s_delay_alu instid0(VALU_DEP_2) | instskip(NEXT) | instid1(VALU_DEP_4)
	v_cndmask_b32_e64 v52, v52, -v52, s2
	v_cndmask_b32_e32 v51, v60, v51, vcc_lo
	v_cmp_lt_f32_e32 vcc_lo, 0, v39
	s_delay_alu instid0(VALU_DEP_3) | instskip(NEXT) | instid1(VALU_DEP_3)
	v_cndmask_b32_e64 v52, -v52, v52, vcc_lo
	v_cndmask_b32_e64 v51, -v51, v51, vcc_lo
	s_delay_alu instid0(VALU_DEP_1) | instskip(SKIP_3) | instid1(VALU_DEP_4)
	v_dual_add_f32 v77, v40, v52 :: v_dual_add_f32 v78, v39, v51
	v_add_co_u32 v51, vcc_lo, s18, v43
	v_add_co_ci_u32_e32 v52, vcc_lo, s19, v44, vcc_lo
	v_add_co_u32 v59, vcc_lo, s24, v43
	v_mul_f32_e64 v43, v77, -v77
	global_load_b64 v[63:64], v[37:38], off
	global_load_b64 v[65:66], v[51:52], off
	v_add_co_ci_u32_e32 v60, vcc_lo, s25, v44, vcc_lo
	v_add_co_u32 v61, vcc_lo, s12, v41
	v_fmac_f32_e32 v43, v78, v78
	v_add_co_ci_u32_e32 v62, vcc_lo, s13, v42, vcc_lo
	v_add_co_u32 v67, vcc_lo, s14, v53
	s_delay_alu instid0(VALU_DEP_3) | instskip(SKIP_4) | instid1(VALU_DEP_4)
	v_add_f32_e32 v2, v2, v43
	v_mul_f32_e32 v80, v78, v77
	v_mul_f32_e32 v88, v36, v77
	v_add_co_ci_u32_e32 v68, vcc_lo, s15, v54, vcc_lo
	v_add_co_u32 v53, s2, s6, v53
	v_fmac_f32_e32 v80, v77, v78
	v_mul_f32_e32 v79, v77, v77
	v_add_co_ci_u32_e64 v54, s2, s7, v54, s2
	global_load_b64 v[69:70], v[59:60], off
	v_add_f32_e32 v6, v6, v80
	v_fmac_f32_e32 v79, v78, v78
	global_load_b64 v[71:72], v[61:62], off
	global_load_b64 v[73:74], v[67:68], off
	;; [unrolled: 1-line block ×3, first 2 shown]
	v_mul_f32_e64 v87, v77, -v33
	v_mul_f32_e64 v90, v77, -v35
	v_mul_f32_e32 v81, v6, v6
	v_div_scale_f32 v44, null, v79, v79, 1.0
	v_div_scale_f32 v82, vcc_lo, 1.0, v79, 1.0
	v_fmac_f32_e32 v88, v35, v78
	s_delay_alu instid0(VALU_DEP_3) | instskip(SKIP_4) | instid1(VALU_DEP_1)
	v_rcp_f32_e32 v41, v44
	v_fmac_f32_e32 v87, v34, v78
	v_fmac_f32_e32 v90, v36, v78
	s_waitcnt_depctr 0xfff
	v_fma_f32 v42, -v44, v41, 1.0
	v_fmac_f32_e32 v41, v42, v41
	s_delay_alu instid0(VALU_DEP_1) | instskip(NEXT) | instid1(VALU_DEP_1)
	v_mul_f32_e32 v42, v82, v41
	v_fma_f32 v86, -v44, v42, v82
	s_delay_alu instid0(VALU_DEP_1) | instskip(NEXT) | instid1(VALU_DEP_1)
	v_dual_mul_f32 v85, v77, v34 :: v_dual_fmac_f32 v42, v86, v41
	v_fma_f32 v44, -v44, v42, v82
	v_mul_f32_e32 v82, 0x80000000, v80
	s_delay_alu instid0(VALU_DEP_2) | instskip(SKIP_1) | instid1(VALU_DEP_2)
	v_div_fmas_f32 v41, v44, v41, v42
	v_dual_add_f32 v44, v80, v80 :: v_dual_fmac_f32 v81, v2, v2
	v_div_fixup_f32 v79, v41, v79, 1.0
	s_delay_alu instid0(VALU_DEP_2) | instskip(NEXT) | instid1(VALU_DEP_1)
	v_div_scale_f32 v83, null, v81, v81, 1.0
	v_rcp_f32_e32 v84, v83
	s_waitcnt_depctr 0xfff
	v_fma_f32 v89, -v83, v84, 1.0
	s_delay_alu instid0(VALU_DEP_1) | instskip(SKIP_3) | instid1(VALU_DEP_2)
	v_fmac_f32_e32 v84, v89, v84
	v_fmac_f32_e32 v82, 2.0, v43
	v_div_scale_f32 v86, s2, 1.0, v81, 1.0
	v_dual_fmac_f32 v85, v33, v78 :: v_dual_fmac_f32 v44, 0, v43
	v_dual_mul_f32 v78, v87, v79 :: v_dual_mul_f32 v89, v86, v84
	s_delay_alu instid0(VALU_DEP_4) | instskip(NEXT) | instid1(VALU_DEP_3)
	v_mul_f32_e64 v43, v6, -v82
	v_dual_mul_f32 v77, v85, v79 :: v_dual_mul_f32 v6, v6, v44
	s_mov_b32 vcc_lo, s2
	s_delay_alu instid0(VALU_DEP_3) | instskip(NEXT) | instid1(VALU_DEP_3)
	v_fma_f32 v42, -v83, v89, v86
	v_fmac_f32_e32 v43, v44, v2
	s_delay_alu instid0(VALU_DEP_3)
	v_fma_f32 v39, v77, v33, v39
	global_store_b64 v[31:32], v[77:78], off
	v_fmac_f32_e32 v6, v82, v2
	v_fmac_f32_e32 v89, v42, v84
	v_mul_f32_e32 v42, v90, v79
	s_waitcnt vmcnt(6)
	v_fma_f32 v80, v78, v17, v58
	v_mul_f32_e32 v41, v88, v79
	v_fma_f32 v79, -v83, v89, v86
	v_fma_f32 v83, v77, v17, v57
	s_delay_alu instid0(VALU_DEP_4) | instskip(SKIP_1) | instid1(VALU_DEP_4)
	v_fmac_f32_e32 v80, v77, v18
	v_fmac_f32_e32 v40, v78, v33
	v_div_fmas_f32 v79, v79, v84, v89
	s_delay_alu instid0(VALU_DEP_4) | instskip(SKIP_1) | instid1(VALU_DEP_3)
	v_fma_f32 v83, -v78, v18, v83
	v_fma_f32 v33, -v78, v34, v39
	v_div_fixup_f32 v44, v79, v81, 1.0
	v_fmac_f32_e32 v80, v42, v21
	s_delay_alu instid0(VALU_DEP_4) | instskip(NEXT) | instid1(VALU_DEP_4)
	v_fmac_f32_e32 v83, v41, v21
	v_fmac_f32_e32 v33, v41, v35
	s_delay_alu instid0(VALU_DEP_4) | instskip(SKIP_1) | instid1(VALU_DEP_4)
	v_dual_fmac_f32 v40, v77, v34 :: v_dual_mul_f32 v79, v43, v44
	v_mul_f32_e32 v6, v44, v6
	v_fma_f32 v81, -v42, v22, v83
	v_fmac_f32_e32 v80, v41, v22
	v_fma_f32 v44, v78, v77, 0
	v_fma_f32 v31, -v42, v36, v33
	s_delay_alu instid0(VALU_DEP_4) | instskip(NEXT) | instid1(VALU_DEP_4)
	v_mul_f32_e32 v43, v79, v81
	v_mul_f32_e64 v2, v79, -v80
	s_delay_alu instid0(VALU_DEP_4) | instskip(NEXT) | instid1(VALU_DEP_3)
	v_fmac_f32_e32 v44, v77, v78
	v_fmac_f32_e32 v43, v80, v6
	s_delay_alu instid0(VALU_DEP_3) | instskip(NEXT) | instid1(VALU_DEP_3)
	v_fmac_f32_e32 v2, v81, v6
	v_fmac_f32_e32 v44, v42, v41
	s_delay_alu instid0(VALU_DEP_2) | instskip(SKIP_3) | instid1(VALU_DEP_1)
	v_dual_sub_f32 v58, v58, v43 :: v_dual_sub_f32 v57, v57, v2
	global_store_b64 v[55:56], v[57:58], off
	global_load_b64 v[55:56], v[61:62], off
	v_fma_f32 v57, v77, v77, 1.0
	v_fma_f32 v57, -v78, v78, v57
	s_delay_alu instid0(VALU_DEP_1) | instskip(NEXT) | instid1(VALU_DEP_1)
	v_dual_fmac_f32 v57, v41, v41 :: v_dual_fmac_f32 v40, v42, v35
	v_fma_f32 v57, -v42, v42, v57
	s_delay_alu instid0(VALU_DEP_2) | instskip(SKIP_1) | instid1(VALU_DEP_2)
	v_fmac_f32_e32 v40, v41, v36
	v_mul_f32_e32 v36, v79, v31
	v_mul_f32_e64 v35, v79, -v40
	s_delay_alu instid0(VALU_DEP_1) | instskip(SKIP_1) | instid1(VALU_DEP_1)
	v_fmac_f32_e32 v35, v31, v6
	s_waitcnt vmcnt(6)
	v_dual_fmac_f32 v44, v41, v42 :: v_dual_sub_f32 v31, v63, v35
	s_delay_alu instid0(VALU_DEP_1) | instskip(NEXT) | instid1(VALU_DEP_1)
	v_mul_f32_e32 v58, v44, v44
	v_dual_mul_f32 v33, 0, v44 :: v_dual_fmac_f32 v58, v57, v57
	s_delay_alu instid0(VALU_DEP_1) | instskip(NEXT) | instid1(VALU_DEP_2)
	v_fmac_f32_e32 v33, 2.0, v57
	v_div_scale_f32 v80, null, v58, v58, 1.0
	v_div_scale_f32 v83, vcc_lo, 1.0, v58, 1.0
	s_delay_alu instid0(VALU_DEP_2)
	v_rcp_f32_e32 v81, v80
	s_waitcnt vmcnt(2)
	v_fma_f32 v63, v78, v71, v74
	s_waitcnt_depctr 0xfff
	v_fma_f32 v82, -v80, v81, 1.0
	v_dual_fmac_f32 v63, v77, v72 :: v_dual_fmac_f32 v36, v40, v6
	s_delay_alu instid0(VALU_DEP_2) | instskip(SKIP_2) | instid1(VALU_DEP_3)
	v_fmac_f32_e32 v81, v82, v81
	v_fma_f32 v40, v78, v23, v70
	v_fma_f32 v17, -v2, v77, v17
	v_dual_fmac_f32 v63, v42, v11 :: v_dual_mul_f32 v82, v83, v81
	s_delay_alu instid0(VALU_DEP_2) | instskip(NEXT) | instid1(VALU_DEP_2)
	v_dual_fmac_f32 v40, v77, v24 :: v_dual_fmac_f32 v17, v43, v78
	v_fmac_f32_e32 v63, v41, v12
	s_delay_alu instid0(VALU_DEP_3) | instskip(NEXT) | instid1(VALU_DEP_3)
	v_fma_f32 v39, -v80, v82, v83
	v_fmac_f32_e32 v40, v42, v27
	s_delay_alu instid0(VALU_DEP_2) | instskip(SKIP_1) | instid1(VALU_DEP_3)
	v_fmac_f32_e32 v82, v39, v81
	v_fma_f32 v39, v78, v25, v66
	v_fmac_f32_e32 v40, v41, v28
	s_delay_alu instid0(VALU_DEP_3) | instskip(NEXT) | instid1(VALU_DEP_3)
	v_fma_f32 v32, -v80, v82, v83
	v_fmac_f32_e32 v39, v77, v26
	s_delay_alu instid0(VALU_DEP_2) | instskip(NEXT) | instid1(VALU_DEP_2)
	v_div_fmas_f32 v32, v32, v81, v82
	v_dual_fmac_f32 v39, v42, v29 :: v_dual_mul_f32 v34, -2.0, v44
	s_and_not1_b32 vcc_lo, exec_lo, s28
	s_delay_alu instid0(VALU_DEP_2) | instskip(NEXT) | instid1(VALU_DEP_2)
	v_div_fixup_f32 v32, v32, v58, 1.0
	v_dual_fmac_f32 v39, v41, v30 :: v_dual_fmac_f32 v34, 0, v57
	s_delay_alu instid0(VALU_DEP_2) | instskip(SKIP_1) | instid1(VALU_DEP_3)
	v_mul_f32_e32 v44, v33, v32
	v_fma_f32 v33, v77, v23, v69
	v_mul_f32_e32 v80, v34, v32
	v_fma_f32 v32, v77, v25, v65
	s_delay_alu instid0(VALU_DEP_3) | instskip(NEXT) | instid1(VALU_DEP_2)
	v_fma_f32 v33, -v78, v24, v33
	v_fma_f32 v34, -v78, v26, v32
	v_sub_f32_e32 v32, v64, v36
	s_waitcnt vmcnt(1)
	v_fma_f32 v64, v78, v19, v76
	v_fmac_f32_e32 v33, v41, v27
	v_fmac_f32_e32 v34, v41, v29
	s_delay_alu instid0(VALU_DEP_3) | instskip(NEXT) | instid1(VALU_DEP_3)
	v_fmac_f32_e32 v64, v77, v20
	v_fma_f32 v36, -v42, v28, v33
	v_mul_f32_e64 v33, v79, -v39
	s_delay_alu instid0(VALU_DEP_4) | instskip(NEXT) | instid1(VALU_DEP_1)
	v_fma_f32 v35, -v42, v30, v34
	v_dual_fmac_f32 v64, v42, v3 :: v_dual_fmac_f32 v33, v35, v6
	v_mul_f32_e32 v34, v79, v35
	s_delay_alu instid0(VALU_DEP_2) | instskip(NEXT) | instid1(VALU_DEP_3)
	v_fmac_f32_e32 v64, v41, v4
	v_sub_f32_e32 v35, v65, v33
	global_store_b64 v[37:38], v[31:32], off
	v_fma_f32 v38, v77, v19, v75
	v_mul_f32_e64 v31, v79, -v40
	v_fma_f32 v37, v77, v71, v73
	v_fmac_f32_e32 v34, v39, v6
	v_fma_f32 v39, -v33, v77, v25
	v_fma_f32 v71, -v78, v20, v38
	v_dual_fmac_f32 v31, v36, v6 :: v_dual_mul_f32 v32, v79, v36
	v_fma_f32 v58, -v78, v72, v37
	s_delay_alu instid0(VALU_DEP_3) | instskip(NEXT) | instid1(VALU_DEP_3)
	v_dual_sub_f32 v36, v66, v34 :: v_dual_fmac_f32 v71, v41, v3
	v_dual_sub_f32 v37, v69, v31 :: v_dual_fmac_f32 v32, v40, v6
	s_delay_alu instid0(VALU_DEP_3) | instskip(SKIP_1) | instid1(VALU_DEP_4)
	v_fmac_f32_e32 v58, v41, v11
	v_fma_f32 v57, -v31, v77, v23
	v_fma_f32 v66, -v42, v4, v71
	v_fmac_f32_e32 v39, v34, v78
	v_fma_f32 v23, -v32, v77, v24
	v_fma_f32 v65, -v42, v12, v58
	v_mul_f32_e64 v24, v79, -v63
	v_dual_sub_f32 v38, v70, v32 :: v_dual_fmac_f32 v57, v32, v78
	s_delay_alu instid0(VALU_DEP_4) | instskip(SKIP_1) | instid1(VALU_DEP_4)
	v_fma_f32 v58, -v31, v78, v23
	v_mul_f32_e32 v23, v80, v66
	v_fmac_f32_e32 v24, v65, v6
	global_store_b64 v[51:52], v[35:36], off
	global_store_b64 v[59:60], v[37:38], off
	;; [unrolled: 1-line block ×3, first 2 shown]
	v_fmac_f32_e32 v23, v64, v44
	v_fma_f32 v25, -v34, v77, v26
	v_dual_mul_f32 v26, v79, v65 :: v_dual_sub_f32 v13, v73, v24
	s_delay_alu instid0(VALU_DEP_2) | instskip(SKIP_1) | instid1(VALU_DEP_3)
	v_fma_f32 v40, -v33, v78, v25
	v_mul_f32_e64 v25, v80, -v64
	v_fmac_f32_e32 v26, v63, v6
	v_fma_f32 v6, -v43, v77, v18
	global_store_b64 v[15:16], v[39:40], off
	v_fmac_f32_e32 v25, v66, v44
	v_sub_f32_e32 v14, v74, v26
	v_sub_f32_e32 v16, v76, v23
	v_fma_f32 v18, -v2, v78, v6
	s_delay_alu instid0(VALU_DEP_4) | instskip(SKIP_2) | instid1(VALU_DEP_3)
	v_fma_f32 v19, -v77, v25, v19
	v_fma_f32 v20, -v78, v25, v20
	v_sub_f32_e32 v15, v75, v25
	v_fmac_f32_e32 v19, v78, v23
	s_delay_alu instid0(VALU_DEP_3) | instskip(SKIP_3) | instid1(VALU_DEP_2)
	v_fma_f32 v20, -v77, v23, v20
	s_waitcnt vmcnt(0)
	v_fma_f32 v35, -v24, v77, v55
	v_fma_f32 v36, -v26, v77, v56
	v_fmac_f32_e32 v35, v26, v78
	s_delay_alu instid0(VALU_DEP_2)
	v_fma_f32 v36, -v24, v78, v36
	global_store_b64 v[67:68], v[13:14], off
	global_store_b64 v[53:54], v[15:16], off
	global_store_b64 v[7:8], v[17:18], off
	global_store_b64 v[61:62], v[35:36], off
	global_store_b64 v[9:10], v[19:20], off
	s_cbranch_vccnz .LBB7_3
; %bb.14:                               ;   in Loop: Header=BB7_4 Depth=1
	v_ashrrev_i32_e32 v6, 31, v5
	v_fma_f32 v7, -v33, v41, v29
	v_fma_f32 v8, -v34, v41, v30
	;; [unrolled: 1-line block ×4, first 2 shown]
	v_lshlrev_b64 v[5:6], 3, v[5:6]
	v_fma_f32 v11, -v24, v41, v11
	v_fma_f32 v12, -v26, v41, v12
	;; [unrolled: 1-line block ×4, first 2 shown]
	v_fmac_f32_e32 v7, v34, v42
	v_add_co_u32 v13, vcc_lo, s20, v5
	v_add_co_ci_u32_e32 v14, vcc_lo, s21, v6, vcc_lo
	v_add_co_u32 v15, vcc_lo, s22, v5
	v_add_co_ci_u32_e32 v16, vcc_lo, s23, v6, vcc_lo
	global_store_b64 v[13:14], v[41:42], off
	v_fma_f32 v14, -v43, v41, v22
	v_fma_f32 v13, -v2, v41, v21
	v_add_co_u32 v17, vcc_lo, s16, v5
	v_add_co_ci_u32_e32 v18, vcc_lo, s17, v6, vcc_lo
	s_delay_alu instid0(VALU_DEP_4) | instskip(SKIP_3) | instid1(VALU_DEP_3)
	v_fma_f32 v14, -v2, v42, v14
	v_ashrrev_i32_e32 v2, 31, v1
	v_add_co_u32 v19, vcc_lo, s18, v5
	v_add_co_ci_u32_e32 v20, vcc_lo, s19, v6, vcc_lo
	v_lshlrev_b64 v[1:2], 3, v[1:2]
	v_add_co_u32 v5, vcc_lo, s24, v5
	v_fma_f32 v8, -v33, v42, v8
	v_fmac_f32_e32 v9, v32, v42
	v_fma_f32 v10, -v31, v42, v10
	v_add_co_ci_u32_e32 v6, vcc_lo, s25, v6, vcc_lo
	v_fmac_f32_e32 v13, v43, v42
	v_add_co_u32 v1, vcc_lo, s6, v1
	v_fmac_f32_e32 v11, v26, v42
	v_fma_f32 v12, -v24, v42, v12
	v_fmac_f32_e32 v3, v42, v23
	v_fma_f32 v4, -v41, v23, v4
	v_add_co_ci_u32_e32 v2, vcc_lo, s7, v2, vcc_lo
	global_store_b64 v[15:16], v[7:8], off
	global_store_b64 v[17:18], v[9:10], off
	global_store_b64 v[19:20], v[13:14], off
	global_store_b64 v[5:6], v[11:12], off
	global_store_b64 v[1:2], v[3:4], off
	s_branch .LBB7_3
.LBB7_15:
	s_cmp_lt_i32 s8, 1
	s_cbranch_scc1 .LBB7_28
; %bb.16:
	v_mad_u64_u32 v[1:2], null, s9, s11, v[0:1]
	s_load_b64 s[0:1], s[0:1], 0x38
	s_add_i32 s2, s8, 3
	s_waitcnt vmcnt(0)
	s_delay_alu instid0(VALU_DEP_1) | instskip(SKIP_1) | instid1(SALU_CYCLE_1)
	v_mad_u64_u32 v[2:3], null, s10, s2, v[0:1]
	s_add_i32 s2, s8, 2
	v_mad_u64_u32 v[3:4], null, s10, s2, v[0:1]
	s_add_i32 s2, s8, 1
	s_delay_alu instid0(SALU_CYCLE_1)
	v_mad_u64_u32 v[4:5], null, s10, s2, v[0:1]
	v_mad_u64_u32 v[5:6], null, s10, s8, v[0:1]
	;; [unrolled: 1-line block ×3, first 2 shown]
	s_mov_b32 s2, s8
	s_branch .LBB7_18
.LBB7_17:                               ;   in Loop: Header=BB7_18 Depth=1
	v_lshlrev_b64 v[7:8], 3, v[7:8]
	v_subrev_nc_u32_e32 v1, s9, v1
	v_subrev_nc_u32_e32 v2, s10, v2
	;; [unrolled: 1-line block ×5, first 2 shown]
	s_waitcnt lgkmcnt(0)
	v_add_co_u32 v12, vcc_lo, s16, v7
	v_add_co_ci_u32_e32 v13, vcc_lo, s17, v8, vcc_lo
	v_add_co_u32 v9, vcc_lo, s6, v9
	v_add_co_ci_u32_e32 v10, vcc_lo, s7, v10, vcc_lo
	global_load_b64 v[12:13], v[12:13], off
	v_subrev_nc_u32_e32 v6, s10, v6
	s_add_i32 s2, s2, -1
	global_load_b64 v[9:10], v[9:10], off
	s_cmp_gt_i32 s2, 0
	s_waitcnt vmcnt(1)
	v_mul_f32_e32 v14, v13, v13
	s_waitcnt vmcnt(0)
	v_dual_sub_f32 v0, v10, v0 :: v_dual_sub_f32 v9, v9, v11
	s_delay_alu instid0(VALU_DEP_2) | instskip(NEXT) | instid1(VALU_DEP_2)
	v_fmac_f32_e32 v14, v12, v12
	v_mul_f32_e32 v11, v13, v0
	s_delay_alu instid0(VALU_DEP_3) | instskip(NEXT) | instid1(VALU_DEP_3)
	v_mul_f32_e64 v13, v13, -v9
	v_div_scale_f32 v15, null, v14, v14, 1.0
	v_div_scale_f32 v18, vcc_lo, 1.0, v14, 1.0
	s_delay_alu instid0(VALU_DEP_4) | instskip(NEXT) | instid1(VALU_DEP_3)
	v_fmac_f32_e32 v11, v9, v12
	v_rcp_f32_e32 v16, v15
	v_fmac_f32_e32 v13, v0, v12
	s_waitcnt_depctr 0xfff
	v_fma_f32 v17, -v15, v16, 1.0
	s_delay_alu instid0(VALU_DEP_1) | instskip(NEXT) | instid1(VALU_DEP_1)
	v_fmac_f32_e32 v16, v17, v16
	v_mul_f32_e32 v17, v18, v16
	s_delay_alu instid0(VALU_DEP_1) | instskip(NEXT) | instid1(VALU_DEP_1)
	v_fma_f32 v19, -v15, v17, v18
	v_fmac_f32_e32 v17, v19, v16
	s_delay_alu instid0(VALU_DEP_1) | instskip(NEXT) | instid1(VALU_DEP_1)
	v_fma_f32 v10, -v15, v17, v18
	v_div_fmas_f32 v10, v10, v16, v17
	v_add_co_u32 v7, vcc_lo, s0, v7
	v_add_co_ci_u32_e32 v8, vcc_lo, s1, v8, vcc_lo
	s_delay_alu instid0(VALU_DEP_3) | instskip(NEXT) | instid1(VALU_DEP_1)
	v_div_fixup_f32 v0, v10, v14, 1.0
	v_dual_mul_f32 v9, v0, v11 :: v_dual_mul_f32 v10, v13, v0
	global_store_b64 v[7:8], v[9:10], off
	s_cbranch_scc0 .LBB7_28
.LBB7_18:                               ; =>This Inner Loop Header: Depth=1
	s_delay_alu instid0(VALU_DEP_1) | instskip(SKIP_2) | instid1(VALU_DEP_2)
	v_dual_mov_b32 v0, 0 :: v_dual_add_nc_u32 v7, s5, v6
	v_mov_b32_e32 v11, 0
	s_cmp_ge_i32 s2, s8
	v_ashrrev_i32_e32 v8, 31, v7
	s_cbranch_scc1 .LBB7_20
; %bb.19:                               ;   in Loop: Header=BB7_18 Depth=1
	v_add_nc_u32_e32 v9, s5, v5
	s_delay_alu instid0(VALU_DEP_2) | instskip(NEXT) | instid1(VALU_DEP_2)
	v_lshlrev_b64 v[11:12], 3, v[7:8]
	v_ashrrev_i32_e32 v10, 31, v9
	s_waitcnt lgkmcnt(0)
	s_delay_alu instid0(VALU_DEP_2) | instskip(NEXT) | instid1(VALU_DEP_3)
	v_add_co_u32 v11, vcc_lo, s18, v11
	v_add_co_ci_u32_e32 v12, vcc_lo, s19, v12, vcc_lo
	s_delay_alu instid0(VALU_DEP_3) | instskip(NEXT) | instid1(VALU_DEP_1)
	v_lshlrev_b64 v[9:10], 3, v[9:10]
	v_add_co_u32 v9, vcc_lo, s0, v9
	s_delay_alu instid0(VALU_DEP_2)
	v_add_co_ci_u32_e32 v10, vcc_lo, s1, v10, vcc_lo
	global_load_b64 v[11:12], v[11:12], off
	global_load_b64 v[9:10], v[9:10], off
	s_waitcnt vmcnt(0)
	v_mul_f32_e64 v0, v10, -v12
	v_mul_f32_e32 v10, v10, v11
	s_delay_alu instid0(VALU_DEP_2) | instskip(NEXT) | instid1(VALU_DEP_1)
	v_fmac_f32_e32 v0, v11, v9
	v_dual_fmac_f32 v10, v12, v9 :: v_dual_add_f32 v11, 0, v0
	s_delay_alu instid0(VALU_DEP_1)
	v_add_f32_e32 v0, 0, v10
.LBB7_20:                               ;   in Loop: Header=BB7_18 Depth=1
	s_add_i32 s3, s2, 1
	s_delay_alu instid0(SALU_CYCLE_1)
	s_cmp_ge_i32 s3, s8
	s_cbranch_scc1 .LBB7_22
; %bb.21:                               ;   in Loop: Header=BB7_18 Depth=1
	v_add_nc_u32_e32 v9, s5, v4
	v_lshlrev_b64 v[12:13], 3, v[7:8]
	s_delay_alu instid0(VALU_DEP_2) | instskip(SKIP_1) | instid1(VALU_DEP_2)
	v_ashrrev_i32_e32 v10, 31, v9
	s_waitcnt lgkmcnt(0)
	v_add_co_u32 v12, vcc_lo, s24, v12
	s_delay_alu instid0(VALU_DEP_3) | instskip(NEXT) | instid1(VALU_DEP_3)
	v_add_co_ci_u32_e32 v13, vcc_lo, s25, v13, vcc_lo
	v_lshlrev_b64 v[9:10], 3, v[9:10]
	s_delay_alu instid0(VALU_DEP_1) | instskip(NEXT) | instid1(VALU_DEP_2)
	v_add_co_u32 v9, vcc_lo, s0, v9
	v_add_co_ci_u32_e32 v10, vcc_lo, s1, v10, vcc_lo
	global_load_b64 v[12:13], v[12:13], off
	global_load_b64 v[9:10], v[9:10], off
	s_waitcnt vmcnt(0)
	v_mul_f32_e64 v14, v10, -v13
	s_delay_alu instid0(VALU_DEP_1) | instskip(NEXT) | instid1(VALU_DEP_1)
	v_fmac_f32_e32 v14, v12, v9
	v_dual_mul_f32 v10, v10, v12 :: v_dual_add_f32 v11, v11, v14
	s_delay_alu instid0(VALU_DEP_1) | instskip(NEXT) | instid1(VALU_DEP_1)
	v_fmac_f32_e32 v10, v13, v9
	v_add_f32_e32 v0, v0, v10
.LBB7_22:                               ;   in Loop: Header=BB7_18 Depth=1
	v_add_nc_u32_e32 v9, s5, v1
	s_add_i32 s3, s2, 2
	s_delay_alu instid0(SALU_CYCLE_1) | instskip(NEXT) | instid1(VALU_DEP_1)
	s_cmp_lt_i32 s3, s8
	v_ashrrev_i32_e32 v10, 31, v9
	s_cbranch_scc1 .LBB7_27
; %bb.23:                               ;   in Loop: Header=BB7_18 Depth=1
	s_cbranch_execnz .LBB7_25
.LBB7_24:                               ;   in Loop: Header=BB7_18 Depth=1
	v_add_nc_u32_e32 v12, s5, v3
	s_delay_alu instid0(VALU_DEP_2) | instskip(NEXT) | instid1(VALU_DEP_2)
	v_lshlrev_b64 v[14:15], 3, v[9:10]
	v_ashrrev_i32_e32 v13, 31, v12
	s_waitcnt lgkmcnt(0)
	s_delay_alu instid0(VALU_DEP_2) | instskip(NEXT) | instid1(VALU_DEP_3)
	v_add_co_u32 v14, vcc_lo, s12, v14
	v_add_co_ci_u32_e32 v15, vcc_lo, s13, v15, vcc_lo
	s_delay_alu instid0(VALU_DEP_3) | instskip(NEXT) | instid1(VALU_DEP_1)
	v_lshlrev_b64 v[12:13], 3, v[12:13]
	v_add_co_u32 v12, vcc_lo, s0, v12
	s_delay_alu instid0(VALU_DEP_2) | instskip(SKIP_4) | instid1(VALU_DEP_1)
	v_add_co_ci_u32_e32 v13, vcc_lo, s1, v13, vcc_lo
	global_load_b64 v[14:15], v[14:15], off
	global_load_b64 v[12:13], v[12:13], off
	s_waitcnt vmcnt(0)
	v_mul_f32_e64 v16, v13, -v15
	v_dual_mul_f32 v13, v13, v14 :: v_dual_fmac_f32 v16, v14, v12
	s_delay_alu instid0(VALU_DEP_1) | instskip(NEXT) | instid1(VALU_DEP_1)
	v_fmac_f32_e32 v13, v15, v12
	v_dual_add_f32 v11, v11, v16 :: v_dual_add_f32 v0, v0, v13
.LBB7_25:                               ;   in Loop: Header=BB7_18 Depth=1
	s_delay_alu instid0(VALU_DEP_1) | instskip(SKIP_1) | instid1(SALU_CYCLE_1)
	v_lshlrev_b64 v[9:10], 3, v[9:10]
	s_add_i32 s3, s2, 3
	s_cmp_ge_i32 s3, s8
	s_cbranch_scc1 .LBB7_17
; %bb.26:                               ;   in Loop: Header=BB7_18 Depth=1
	v_add_nc_u32_e32 v12, s5, v2
	s_waitcnt lgkmcnt(0)
	v_add_co_u32 v14, vcc_lo, s14, v9
	v_add_co_ci_u32_e32 v15, vcc_lo, s15, v10, vcc_lo
	s_delay_alu instid0(VALU_DEP_3) | instskip(NEXT) | instid1(VALU_DEP_1)
	v_ashrrev_i32_e32 v13, 31, v12
	v_lshlrev_b64 v[12:13], 3, v[12:13]
	s_delay_alu instid0(VALU_DEP_1) | instskip(NEXT) | instid1(VALU_DEP_2)
	v_add_co_u32 v12, vcc_lo, s0, v12
	v_add_co_ci_u32_e32 v13, vcc_lo, s1, v13, vcc_lo
	global_load_b64 v[14:15], v[14:15], off
	global_load_b64 v[12:13], v[12:13], off
	s_waitcnt vmcnt(0)
	v_mul_f32_e64 v16, v13, -v15
	s_delay_alu instid0(VALU_DEP_1) | instskip(NEXT) | instid1(VALU_DEP_1)
	v_dual_mul_f32 v13, v13, v14 :: v_dual_fmac_f32 v16, v14, v12
	v_fmac_f32_e32 v13, v15, v12
	s_delay_alu instid0(VALU_DEP_1)
	v_dual_add_f32 v11, v11, v16 :: v_dual_add_f32 v0, v0, v13
	s_branch .LBB7_17
.LBB7_27:                               ;   in Loop: Header=BB7_18 Depth=1
	s_branch .LBB7_24
.LBB7_28:
	s_nop 0
	s_sendmsg sendmsg(MSG_DEALLOC_VGPRS)
	s_endpgm
	.section	.rodata,"a",@progbits
	.p2align	6, 0x0
	.amdhsa_kernel _ZN9rocsparseL44gpsv_interleaved_batch_householder_qr_kernelILj256E21rocsparse_complex_numIfEEEviiiPT0_S4_S4_S4_S4_S4_S4_S4_S4_
		.amdhsa_group_segment_fixed_size 0
		.amdhsa_private_segment_fixed_size 0
		.amdhsa_kernarg_size 344
		.amdhsa_user_sgpr_count 15
		.amdhsa_user_sgpr_dispatch_ptr 0
		.amdhsa_user_sgpr_queue_ptr 0
		.amdhsa_user_sgpr_kernarg_segment_ptr 1
		.amdhsa_user_sgpr_dispatch_id 0
		.amdhsa_user_sgpr_private_segment_size 0
		.amdhsa_wavefront_size32 1
		.amdhsa_uses_dynamic_stack 0
		.amdhsa_enable_private_segment 0
		.amdhsa_system_sgpr_workgroup_id_x 1
		.amdhsa_system_sgpr_workgroup_id_y 0
		.amdhsa_system_sgpr_workgroup_id_z 0
		.amdhsa_system_sgpr_workgroup_info 0
		.amdhsa_system_vgpr_workitem_id 0
		.amdhsa_next_free_vgpr 91
		.amdhsa_next_free_sgpr 30
		.amdhsa_reserve_vcc 1
		.amdhsa_float_round_mode_32 0
		.amdhsa_float_round_mode_16_64 0
		.amdhsa_float_denorm_mode_32 3
		.amdhsa_float_denorm_mode_16_64 3
		.amdhsa_dx10_clamp 1
		.amdhsa_ieee_mode 1
		.amdhsa_fp16_overflow 0
		.amdhsa_workgroup_processor_mode 1
		.amdhsa_memory_ordered 1
		.amdhsa_forward_progress 0
		.amdhsa_shared_vgpr_count 0
		.amdhsa_exception_fp_ieee_invalid_op 0
		.amdhsa_exception_fp_denorm_src 0
		.amdhsa_exception_fp_ieee_div_zero 0
		.amdhsa_exception_fp_ieee_overflow 0
		.amdhsa_exception_fp_ieee_underflow 0
		.amdhsa_exception_fp_ieee_inexact 0
		.amdhsa_exception_int_div_zero 0
	.end_amdhsa_kernel
	.section	.text._ZN9rocsparseL44gpsv_interleaved_batch_householder_qr_kernelILj256E21rocsparse_complex_numIfEEEviiiPT0_S4_S4_S4_S4_S4_S4_S4_S4_,"axG",@progbits,_ZN9rocsparseL44gpsv_interleaved_batch_householder_qr_kernelILj256E21rocsparse_complex_numIfEEEviiiPT0_S4_S4_S4_S4_S4_S4_S4_S4_,comdat
.Lfunc_end7:
	.size	_ZN9rocsparseL44gpsv_interleaved_batch_householder_qr_kernelILj256E21rocsparse_complex_numIfEEEviiiPT0_S4_S4_S4_S4_S4_S4_S4_S4_, .Lfunc_end7-_ZN9rocsparseL44gpsv_interleaved_batch_householder_qr_kernelILj256E21rocsparse_complex_numIfEEEviiiPT0_S4_S4_S4_S4_S4_S4_S4_S4_
                                        ; -- End function
	.section	.AMDGPU.csdata,"",@progbits
; Kernel info:
; codeLenInByte = 4412
; NumSgprs: 32
; NumVgprs: 91
; ScratchSize: 0
; MemoryBound: 0
; FloatMode: 240
; IeeeMode: 1
; LDSByteSize: 0 bytes/workgroup (compile time only)
; SGPRBlocks: 3
; VGPRBlocks: 11
; NumSGPRsForWavesPerEU: 32
; NumVGPRsForWavesPerEU: 91
; Occupancy: 16
; WaveLimiterHint : 0
; COMPUTE_PGM_RSRC2:SCRATCH_EN: 0
; COMPUTE_PGM_RSRC2:USER_SGPR: 15
; COMPUTE_PGM_RSRC2:TRAP_HANDLER: 0
; COMPUTE_PGM_RSRC2:TGID_X_EN: 1
; COMPUTE_PGM_RSRC2:TGID_Y_EN: 0
; COMPUTE_PGM_RSRC2:TGID_Z_EN: 0
; COMPUTE_PGM_RSRC2:TIDIG_COMP_CNT: 0
	.section	.text._ZN9rocsparseL39gpsv_interleaved_batch_givens_qr_kernelILj128E21rocsparse_complex_numIfEEEviiiPT0_S4_S4_S4_S4_S4_S4_S4_,"axG",@progbits,_ZN9rocsparseL39gpsv_interleaved_batch_givens_qr_kernelILj128E21rocsparse_complex_numIfEEEviiiPT0_S4_S4_S4_S4_S4_S4_S4_,comdat
	.globl	_ZN9rocsparseL39gpsv_interleaved_batch_givens_qr_kernelILj128E21rocsparse_complex_numIfEEEviiiPT0_S4_S4_S4_S4_S4_S4_S4_ ; -- Begin function _ZN9rocsparseL39gpsv_interleaved_batch_givens_qr_kernelILj128E21rocsparse_complex_numIfEEEviiiPT0_S4_S4_S4_S4_S4_S4_S4_
	.p2align	8
	.type	_ZN9rocsparseL39gpsv_interleaved_batch_givens_qr_kernelILj128E21rocsparse_complex_numIfEEEviiiPT0_S4_S4_S4_S4_S4_S4_S4_,@function
_ZN9rocsparseL39gpsv_interleaved_batch_givens_qr_kernelILj128E21rocsparse_complex_numIfEEEviiiPT0_S4_S4_S4_S4_S4_S4_S4_: ; @_ZN9rocsparseL39gpsv_interleaved_batch_givens_qr_kernelILj128E21rocsparse_complex_numIfEEEviiiPT0_S4_S4_S4_S4_S4_S4_S4_
; %bb.0:
	s_load_b128 s[16:19], s[0:1], 0x0
	s_waitcnt lgkmcnt(0)
	s_lshl_b32 s19, s15, 7
	s_mov_b32 s2, exec_lo
	v_or_b32_e32 v1, s19, v0
	s_delay_alu instid0(VALU_DEP_1)
	v_cmpx_gt_i32_e64 s17, v1
	s_cbranch_execz .LBB8_25
; %bb.1:
	s_clause 0x2
	s_load_b64 s[2:3], s[0:1], 0x48
	s_load_b128 s[12:15], s[0:1], 0x38
	s_load_b256 s[4:11], s[0:1], 0x18
	s_add_i32 s22, s16, -2
	s_cmp_lt_i32 s16, 3
	s_cbranch_scc1 .LBB8_16
; %bb.2:
	s_load_b64 s[20:21], s[0:1], 0x10
	v_mov_b32_e32 v26, v1
	v_mov_b32_e32 v28, v1
	s_lshl_b32 s1, s18, 1
	s_mov_b32 s23, s22
	s_branch .LBB8_4
.LBB8_3:                                ;   in Loop: Header=BB8_4 Depth=1
	s_or_b32 exec_lo, exec_lo, s24
	global_load_b64 v[23:24], v[9:10], off
	v_add_co_u32 v29, vcc_lo, s2, v62
	v_add_co_ci_u32_e32 v30, vcc_lo, s3, v63, vcc_lo
	v_mul_f32_e32 v25, 0x4f800000, v22
	v_cmp_gt_f32_e32 vcc_lo, 0xf800000, v22
	s_add_i32 s23, s23, -1
	global_load_b64 v[34:35], v[29:30], off
	s_cmp_eq_u32 s23, 0
	v_dual_mul_f32 v49, 0x80000000, v42 :: v_dual_cndmask_b32 v22, v22, v25
	v_mul_f32_e32 v57, 0x80000000, v54
	s_delay_alu instid0(VALU_DEP_2) | instskip(SKIP_3) | instid1(VALU_DEP_2)
	v_sqrt_f32_e32 v25, v22
	s_waitcnt_depctr 0xfff
	v_add_nc_u32_e32 v28, -1, v25
	v_add_nc_u32_e32 v31, 1, v25
	v_fma_f32 v46, -v28, v25, v22
	s_delay_alu instid0(VALU_DEP_2) | instskip(NEXT) | instid1(VALU_DEP_2)
	v_fma_f32 v47, -v31, v25, v22
	v_cmp_ge_f32_e64 s0, 0, v46
	s_delay_alu instid0(VALU_DEP_1) | instskip(NEXT) | instid1(VALU_DEP_3)
	v_cndmask_b32_e64 v25, v25, v28, s0
	v_cmp_lt_f32_e64 s0, 0, v47
	s_delay_alu instid0(VALU_DEP_1) | instskip(NEXT) | instid1(VALU_DEP_1)
	v_cndmask_b32_e64 v25, v25, v31, s0
	v_mul_f32_e32 v28, 0x37800000, v25
	s_delay_alu instid0(VALU_DEP_1) | instskip(SKIP_1) | instid1(VALU_DEP_2)
	v_cndmask_b32_e32 v25, v25, v28, vcc_lo
	v_cmp_class_f32_e64 vcc_lo, v22, 0x260
	v_cndmask_b32_e32 v22, v25, v22, vcc_lo
	s_delay_alu instid0(VALU_DEP_1) | instskip(NEXT) | instid1(VALU_DEP_1)
	v_fma_f32 v25, v22, v22, 0
	v_div_scale_f32 v28, null, v25, v25, 1.0
	v_div_scale_f32 v47, vcc_lo, 1.0, v25, 1.0
	s_delay_alu instid0(VALU_DEP_2) | instskip(SKIP_2) | instid1(VALU_DEP_1)
	v_rcp_f32_e32 v31, v28
	s_waitcnt_depctr 0xfff
	v_fma_f32 v46, -v28, v31, 1.0
	v_fmac_f32_e32 v31, v46, v31
	s_delay_alu instid0(VALU_DEP_1) | instskip(NEXT) | instid1(VALU_DEP_1)
	v_mul_f32_e32 v46, v47, v31
	v_fma_f32 v48, -v28, v46, v47
	s_delay_alu instid0(VALU_DEP_1) | instskip(SKIP_1) | instid1(VALU_DEP_2)
	v_fmac_f32_e32 v46, v48, v31
	v_mul_f32_e32 v48, 0x80000000, v43
	v_fma_f32 v28, -v28, v46, v47
	s_delay_alu instid0(VALU_DEP_1) | instskip(SKIP_2) | instid1(VALU_DEP_3)
	v_div_fmas_f32 v28, v28, v31, v46
	v_add_co_u32 v46, vcc_lo, s14, v26
	v_add_co_ci_u32_e32 v47, vcc_lo, s15, v27, vcc_lo
	v_div_fixup_f32 v25, v28, v25, 1.0
	v_mov_b32_e32 v28, v11
	v_fma_f32 v11, -v43, v22, v49
	s_delay_alu instid0(VALU_DEP_1) | instskip(SKIP_3) | instid1(VALU_DEP_4)
	v_dual_mul_f32 v56, 0x80000000, v55 :: v_dual_mul_f32 v11, v11, v25
	v_mov_b32_e32 v26, v8
	v_fma_f32 v8, -v55, v22, v57
	v_fmac_f32_e32 v48, v42, v22
	v_dual_fmac_f32 v56, v54, v22 :: v_dual_mul_f32 v61, v11, v39
	v_mul_f32_e64 v49, v40, -v11
	v_mul_f32_e64 v65, v36, -v11
	s_delay_alu instid0(VALU_DEP_4) | instskip(SKIP_4) | instid1(VALU_DEP_4)
	v_dual_mul_f32 v67, v33, v11 :: v_dual_mul_f32 v22, v48, v25
	v_mul_f32_e32 v8, v8, v25
	v_mul_f32_e32 v25, v56, v25
	;; [unrolled: 1-line block ×4, first 2 shown]
	v_dual_fmac_f32 v49, v41, v22 :: v_dual_mul_f32 v58, v36, v8
	v_fmac_f32_e32 v65, v37, v22
	v_mul_f32_e64 v66, v8, -v37
	v_mul_f32_e64 v27, v8, -v55
	;; [unrolled: 1-line block ×3, first 2 shown]
	v_fmac_f32_e32 v58, v37, v25
	s_waitcnt vmcnt(2)
	v_fma_f32 v37, -v51, v25, v65
	v_mul_f32_e64 v68, v32, -v11
	v_dual_mul_f32 v56, v40, v8 :: v_dual_fmac_f32 v27, v54, v25
	v_mul_f32_e64 v69, v8, -v33
	s_delay_alu instid0(VALU_DEP_4) | instskip(SKIP_4) | instid1(VALU_DEP_4)
	v_fmac_f32_e32 v37, v50, v8
	v_dual_mul_f32 v48, v54, v8 :: v_dual_fmac_f32 v31, v40, v22
	v_mul_f32_e64 v62, v38, -v11
	v_mul_f32_e64 v63, v8, -v39
	v_mul_f32_e32 v64, v8, v38
	v_dual_fmac_f32 v48, v55, v25 :: v_dual_fmac_f32 v59, v36, v22
	v_dual_fmac_f32 v57, v40, v25 :: v_dual_fmac_f32 v68, v33, v22
	;; [unrolled: 1-line block ×4, first 2 shown]
	v_fmac_f32_e32 v63, v38, v25
	v_fmac_f32_e32 v64, v39, v25
	;; [unrolled: 1-line block ×3, first 2 shown]
	v_fma_f32 v39, -v45, v25, v68
	v_dual_mul_f32 v60, v32, v8 :: v_dual_fmac_f32 v61, v38, v22
	v_dual_fmac_f32 v56, v41, v25 :: v_dual_fmac_f32 v67, v32, v22
	v_fma_f32 v31, -v52, v25, v31
	v_fma_f32 v32, -v53, v25, v49
	v_dual_fmac_f32 v48, v42, v11 :: v_dual_fmac_f32 v39, v44, v8
	global_store_b64 v[46:47], v[63:64], off
	v_fma_f32 v47, -v43, v11, v27
	v_fma_f32 v31, v53, -v8, v31
	v_fmac_f32_e32 v32, v52, v8
	s_clause 0x1
	global_store_b64 v[20:21], v[47:48], off
	global_store_b64 v[2:3], v[31:32], off
	v_dual_fmac_f32 v60, v33, v25 :: v_dual_fmac_f32 v69, v44, v22
	v_fmac_f32_e32 v57, v52, v22
	v_fma_f32 v33, -v50, v25, v59
	v_fmac_f32_e32 v66, v50, v22
	v_fma_f32 v38, -v44, v25, v67
	v_fma_f32 v59, -v45, v11, v69
	;; [unrolled: 1-line block ×3, first 2 shown]
	v_fma_f32 v36, v51, -v8, v33
	v_fma_f32 v57, -v51, v11, v66
	v_fma_f32 v38, v45, -v8, v38
	s_waitcnt vmcnt(1)
	v_dual_mul_f32 v3, v8, v23 :: v_dual_fmac_f32 v56, v53, v22
	v_mul_f32_e64 v21, v23, -v11
	v_mul_f32_e64 v2, v8, -v24
	s_delay_alu instid0(VALU_DEP_3) | instskip(NEXT) | instid1(VALU_DEP_4)
	v_dual_mul_f32 v20, v11, v24 :: v_dual_fmac_f32 v3, v24, v25
	v_fmac_f32_e32 v56, v52, v11
	s_delay_alu instid0(VALU_DEP_3) | instskip(NEXT) | instid1(VALU_DEP_3)
	v_dual_fmac_f32 v21, v24, v22 :: v_dual_fmac_f32 v2, v23, v25
	v_fmac_f32_e32 v20, v23, v22
	s_waitcnt vmcnt(0)
	v_fmac_f32_e32 v3, v35, v22
	v_fmac_f32_e32 v58, v51, v22
	s_clause 0x1
	global_store_b64 v[18:19], v[55:56], off
	global_store_b64 v[4:5], v[36:37], off
	v_fma_f32 v5, -v35, v25, v21
	v_dual_fmac_f32 v3, v34, v11 :: v_dual_fmac_f32 v60, v45, v22
	v_fmac_f32_e32 v2, v34, v22
	v_fma_f32 v4, -v34, v25, v20
	s_delay_alu instid0(VALU_DEP_4)
	v_fmac_f32_e32 v5, v34, v8
	v_fmac_f32_e32 v58, v50, v11
	;; [unrolled: 1-line block ×3, first 2 shown]
	v_fma_f32 v2, -v35, v11, v2
	v_fma_f32 v4, v35, -v8, v4
	s_clause 0x1
	global_store_b64 v[14:15], v[57:58], off
	global_store_b64 v[6:7], v[38:39], off
	s_clause 0x1
	global_store_b64 v[12:13], v[59:60], off
	global_store_b64 v[16:17], v[61:62], off
	s_clause 0x1
	global_store_b64 v[29:30], v[2:3], off
	global_store_b64 v[9:10], v[4:5], off
	s_cbranch_scc1 .LBB8_16
.LBB8_4:                                ; =>This Inner Loop Header: Depth=1
	v_add_nc_u32_e32 v2, s1, v26
	v_add_nc_u32_e32 v8, s18, v26
                                        ; implicit-def: $vgpr15
	s_mov_b32 s0, exec_lo
	s_delay_alu instid0(VALU_DEP_2) | instskip(NEXT) | instid1(VALU_DEP_2)
	v_ashrrev_i32_e32 v3, 31, v2
	v_ashrrev_i32_e32 v9, 31, v8
	s_delay_alu instid0(VALU_DEP_2) | instskip(NEXT) | instid1(VALU_DEP_2)
	v_lshlrev_b64 v[12:13], 3, v[2:3]
	v_lshlrev_b64 v[9:10], 3, v[8:9]
	s_waitcnt lgkmcnt(0)
	s_delay_alu instid0(VALU_DEP_2) | instskip(NEXT) | instid1(VALU_DEP_3)
	v_add_co_u32 v2, vcc_lo, s20, v12
	v_add_co_ci_u32_e32 v3, vcc_lo, s21, v13, vcc_lo
	s_delay_alu instid0(VALU_DEP_3) | instskip(NEXT) | instid1(VALU_DEP_4)
	v_add_co_u32 v22, vcc_lo, s4, v9
	v_add_co_ci_u32_e32 v23, vcc_lo, s5, v10, vcc_lo
	global_load_b64 v[30:31], v[2:3], off
	v_add_co_u32 v24, vcc_lo, s4, v12
	v_add_co_ci_u32_e32 v25, vcc_lo, s5, v13, vcc_lo
	v_add_co_u32 v2, vcc_lo, s6, v9
	v_add_co_ci_u32_e32 v3, vcc_lo, s7, v10, vcc_lo
	global_load_b64 v[34:35], v[22:23], off
	v_add_co_u32 v42, vcc_lo, s6, v12
	v_add_co_ci_u32_e32 v43, vcc_lo, s7, v13, vcc_lo
	v_add_co_u32 v4, vcc_lo, s8, v9
	v_add_co_ci_u32_e32 v5, vcc_lo, s9, v10, vcc_lo
	;; [unrolled: 2-line block ×5, first 2 shown]
	global_load_b64 v[48:49], v[24:25], off
	s_clause 0x1
	global_load_b64 v[46:47], v[2:3], off
	global_load_b64 v[60:61], v[42:43], off
	s_clause 0x1
	global_load_b64 v[54:55], v[4:5], off
	;; [unrolled: 3-line block ×3, first 2 shown]
	global_load_b64 v[56:57], v[52:53], off
	s_waitcnt vmcnt(8)
	v_mul_f32_e64 v14, v30, -v31
	v_mul_f32_e32 v11, v31, v31
	s_delay_alu instid0(VALU_DEP_2) | instskip(NEXT) | instid1(VALU_DEP_2)
	v_fmac_f32_e32 v14, v31, v30
	v_fmac_f32_e32 v11, v30, v30
	s_waitcnt vmcnt(7)
	s_delay_alu instid0(VALU_DEP_2) | instskip(NEXT) | instid1(VALU_DEP_2)
	v_fmac_f32_e32 v14, v35, v34
	v_fmac_f32_e32 v11, v34, v34
	s_delay_alu instid0(VALU_DEP_2) | instskip(NEXT) | instid1(VALU_DEP_2)
	v_fma_f32 v16, v34, -v35, v14
	v_fmac_f32_e32 v11, v35, v35
	s_delay_alu instid0(VALU_DEP_2) | instskip(SKIP_1) | instid1(VALU_DEP_1)
	v_cmp_gt_f32_e32 vcc_lo, 0, v16
	v_cndmask_b32_e64 v14, v16, -v16, vcc_lo
	v_cmpx_ngt_f32_e32 v11, v14
	s_xor_b32 s24, exec_lo, s0
	s_cbranch_execz .LBB8_8
; %bb.5:                                ;   in Loop: Header=BB8_4 Depth=1
	v_mov_b32_e32 v15, 0
	s_mov_b32 s25, exec_lo
	v_cmpx_neq_f32_e32 0, v16
	s_cbranch_execz .LBB8_7
; %bb.6:                                ;   in Loop: Header=BB8_4 Depth=1
	v_div_scale_f32 v15, null, v14, v14, v11
	v_div_scale_f32 v18, vcc_lo, v11, v14, v11
	s_delay_alu instid0(VALU_DEP_2) | instskip(SKIP_2) | instid1(VALU_DEP_1)
	v_rcp_f32_e32 v16, v15
	s_waitcnt_depctr 0xfff
	v_fma_f32 v17, -v15, v16, 1.0
	v_fmac_f32_e32 v16, v17, v16
	s_delay_alu instid0(VALU_DEP_1) | instskip(NEXT) | instid1(VALU_DEP_1)
	v_mul_f32_e32 v17, v18, v16
	v_fma_f32 v19, -v15, v17, v18
	s_delay_alu instid0(VALU_DEP_1) | instskip(NEXT) | instid1(VALU_DEP_1)
	v_fmac_f32_e32 v17, v19, v16
	v_fma_f32 v15, -v15, v17, v18
	s_delay_alu instid0(VALU_DEP_1) | instskip(NEXT) | instid1(VALU_DEP_1)
	v_div_fmas_f32 v15, v15, v16, v17
	v_div_fixup_f32 v11, v15, v14, v11
	s_delay_alu instid0(VALU_DEP_1) | instskip(NEXT) | instid1(VALU_DEP_1)
	v_fma_f32 v11, v11, v11, 1.0
	v_mul_f32_e32 v15, 0x4f800000, v11
	v_cmp_gt_f32_e32 vcc_lo, 0xf800000, v11
	s_delay_alu instid0(VALU_DEP_2) | instskip(NEXT) | instid1(VALU_DEP_1)
	v_cndmask_b32_e32 v11, v11, v15, vcc_lo
	v_sqrt_f32_e32 v15, v11
	s_waitcnt_depctr 0xfff
	v_add_nc_u32_e32 v16, -1, v15
	v_add_nc_u32_e32 v17, 1, v15
	s_delay_alu instid0(VALU_DEP_2) | instskip(NEXT) | instid1(VALU_DEP_2)
	v_fma_f32 v18, -v16, v15, v11
	v_fma_f32 v19, -v17, v15, v11
	s_delay_alu instid0(VALU_DEP_2) | instskip(NEXT) | instid1(VALU_DEP_1)
	v_cmp_ge_f32_e64 s0, 0, v18
	v_cndmask_b32_e64 v15, v15, v16, s0
	s_delay_alu instid0(VALU_DEP_3) | instskip(NEXT) | instid1(VALU_DEP_1)
	v_cmp_lt_f32_e64 s0, 0, v19
	v_cndmask_b32_e64 v15, v15, v17, s0
	s_delay_alu instid0(VALU_DEP_1) | instskip(NEXT) | instid1(VALU_DEP_1)
	v_mul_f32_e32 v16, 0x37800000, v15
	v_cndmask_b32_e32 v15, v15, v16, vcc_lo
	v_cmp_class_f32_e64 vcc_lo, v11, 0x260
	s_delay_alu instid0(VALU_DEP_2) | instskip(NEXT) | instid1(VALU_DEP_1)
	v_cndmask_b32_e32 v11, v15, v11, vcc_lo
	v_mul_f32_e32 v15, v14, v11
.LBB8_7:                                ;   in Loop: Header=BB8_4 Depth=1
	s_or_b32 exec_lo, exec_lo, s25
                                        ; implicit-def: $vgpr11
                                        ; implicit-def: $vgpr14
.LBB8_8:                                ;   in Loop: Header=BB8_4 Depth=1
	s_and_not1_saveexec_b32 s24, s24
	s_cbranch_execz .LBB8_10
; %bb.9:                                ;   in Loop: Header=BB8_4 Depth=1
	v_div_scale_f32 v15, null, v11, v11, v14
	v_div_scale_f32 v18, vcc_lo, v14, v11, v14
	s_delay_alu instid0(VALU_DEP_2) | instskip(SKIP_2) | instid1(VALU_DEP_1)
	v_rcp_f32_e32 v16, v15
	s_waitcnt_depctr 0xfff
	v_fma_f32 v17, -v15, v16, 1.0
	v_fmac_f32_e32 v16, v17, v16
	s_delay_alu instid0(VALU_DEP_1) | instskip(NEXT) | instid1(VALU_DEP_1)
	v_mul_f32_e32 v17, v18, v16
	v_fma_f32 v19, -v15, v17, v18
	s_delay_alu instid0(VALU_DEP_1) | instskip(NEXT) | instid1(VALU_DEP_1)
	v_fmac_f32_e32 v17, v19, v16
	v_fma_f32 v15, -v15, v17, v18
	s_delay_alu instid0(VALU_DEP_1) | instskip(NEXT) | instid1(VALU_DEP_1)
	v_div_fmas_f32 v15, v15, v16, v17
	v_div_fixup_f32 v14, v15, v11, v14
	s_delay_alu instid0(VALU_DEP_1) | instskip(NEXT) | instid1(VALU_DEP_1)
	v_fma_f32 v14, v14, v14, 1.0
	v_mul_f32_e32 v15, 0x4f800000, v14
	v_cmp_gt_f32_e32 vcc_lo, 0xf800000, v14
	s_delay_alu instid0(VALU_DEP_2) | instskip(NEXT) | instid1(VALU_DEP_1)
	v_cndmask_b32_e32 v14, v14, v15, vcc_lo
	v_sqrt_f32_e32 v15, v14
	s_waitcnt_depctr 0xfff
	v_add_nc_u32_e32 v16, -1, v15
	v_add_nc_u32_e32 v17, 1, v15
	s_delay_alu instid0(VALU_DEP_2) | instskip(NEXT) | instid1(VALU_DEP_2)
	v_fma_f32 v18, -v16, v15, v14
	v_fma_f32 v19, -v17, v15, v14
	s_delay_alu instid0(VALU_DEP_2) | instskip(NEXT) | instid1(VALU_DEP_1)
	v_cmp_ge_f32_e64 s0, 0, v18
	v_cndmask_b32_e64 v15, v15, v16, s0
	s_delay_alu instid0(VALU_DEP_3) | instskip(NEXT) | instid1(VALU_DEP_1)
	v_cmp_lt_f32_e64 s0, 0, v19
	v_cndmask_b32_e64 v15, v15, v17, s0
	s_delay_alu instid0(VALU_DEP_1) | instskip(NEXT) | instid1(VALU_DEP_1)
	v_mul_f32_e32 v16, 0x37800000, v15
	v_cndmask_b32_e32 v15, v15, v16, vcc_lo
	v_cmp_class_f32_e64 vcc_lo, v14, 0x260
	s_delay_alu instid0(VALU_DEP_2) | instskip(NEXT) | instid1(VALU_DEP_1)
	v_cndmask_b32_e32 v14, v15, v14, vcc_lo
	v_mul_f32_e32 v15, v11, v14
.LBB8_10:                               ;   in Loop: Header=BB8_4 Depth=1
	s_or_b32 exec_lo, exec_lo, s24
	s_delay_alu instid0(VALU_DEP_1)
	v_mul_f32_e32 v11, 0x4f800000, v15
	v_cmp_gt_f32_e32 vcc_lo, 0xf800000, v15
	v_dual_mul_f32 v36, 0x80000000, v35 :: v_dual_mul_f32 v39, 0x80000000, v30
	v_mul_f32_e32 v38, 0x80000000, v31
	v_ashrrev_i32_e32 v27, 31, v26
	v_cndmask_b32_e32 v11, v15, v11, vcc_lo
	v_ashrrev_i32_e32 v29, 31, v28
	v_mul_f32_e32 v37, 0x80000000, v34
	s_delay_alu instid0(VALU_DEP_4) | instskip(NEXT) | instid1(VALU_DEP_4)
	v_lshlrev_b64 v[62:63], 3, v[26:27]
	v_sqrt_f32_e32 v14, v11
	s_delay_alu instid0(VALU_DEP_3) | instskip(SKIP_3) | instid1(VALU_DEP_2)
	v_lshlrev_b64 v[26:27], 3, v[28:29]
	s_waitcnt_depctr 0xfff
	v_add_nc_u32_e32 v15, -1, v14
	v_add_nc_u32_e32 v16, 1, v14
	v_fma_f32 v17, -v15, v14, v11
	s_delay_alu instid0(VALU_DEP_2) | instskip(NEXT) | instid1(VALU_DEP_2)
	v_fma_f32 v18, -v16, v14, v11
	v_cmp_ge_f32_e64 s0, 0, v17
	s_delay_alu instid0(VALU_DEP_1) | instskip(NEXT) | instid1(VALU_DEP_3)
	v_cndmask_b32_e64 v14, v14, v15, s0
	v_cmp_lt_f32_e64 s0, 0, v18
	s_delay_alu instid0(VALU_DEP_1) | instskip(SKIP_1) | instid1(VALU_DEP_1)
	v_cndmask_b32_e64 v14, v14, v16, s0
	v_add_co_u32 v64, s0, s2, v12
	v_add_co_ci_u32_e64 v65, s0, s3, v13, s0
	s_delay_alu instid0(VALU_DEP_3) | instskip(SKIP_1) | instid1(VALU_DEP_1)
	v_mul_f32_e32 v15, 0x37800000, v14
	v_add_co_u32 v20, s0, s6, v62
	v_add_co_ci_u32_e64 v21, s0, s7, v63, s0
	s_delay_alu instid0(VALU_DEP_3)
	v_cndmask_b32_e32 v14, v14, v15, vcc_lo
	v_cmp_class_f32_e64 vcc_lo, v11, 0x260
	global_load_b64 v[68:69], v[64:65], off
	v_cndmask_b32_e32 v32, v14, v11, vcc_lo
	v_add_co_u32 v9, vcc_lo, s2, v9
	v_add_co_ci_u32_e32 v10, vcc_lo, s3, v10, vcc_lo
	s_delay_alu instid0(VALU_DEP_3)
	v_fma_f32 v33, v32, v32, 0
	v_add_nc_u32_e32 v11, s17, v28
	v_fma_f32 v28, -v31, v32, v39
	v_fmac_f32_e32 v36, v34, v32
	v_fmac_f32_e32 v38, v30, v32
	v_div_scale_f32 v14, null, v33, v33, 1.0
	v_div_scale_f32 v18, vcc_lo, 1.0, v33, 1.0
	v_ashrrev_i32_e32 v12, 31, v11
	s_delay_alu instid0(VALU_DEP_3) | instskip(SKIP_2) | instid1(VALU_DEP_1)
	v_rcp_f32_e32 v15, v14
	global_load_b64 v[66:67], v[9:10], off
	v_fma_f32 v16, -v14, v15, 1.0
	v_fmac_f32_e32 v15, v16, v15
	v_lshlrev_b64 v[16:17], 3, v[11:12]
	s_delay_alu instid0(VALU_DEP_2) | instskip(NEXT) | instid1(VALU_DEP_1)
	v_mul_f32_e32 v13, v18, v15
	v_fma_f32 v19, -v14, v13, v18
	s_delay_alu instid0(VALU_DEP_1) | instskip(NEXT) | instid1(VALU_DEP_1)
	v_fmac_f32_e32 v13, v19, v15
	v_fma_f32 v12, -v14, v13, v18
	v_add_co_u32 v18, s0, s8, v62
	s_delay_alu instid0(VALU_DEP_1) | instskip(NEXT) | instid1(VALU_DEP_3)
	v_add_co_ci_u32_e64 v19, s0, s9, v63, s0
	v_div_fmas_f32 v12, v12, v15, v13
	v_add_co_u32 v14, vcc_lo, s10, v62
	v_add_co_ci_u32_e32 v15, vcc_lo, s11, v63, vcc_lo
	s_delay_alu instid0(VALU_DEP_3) | instskip(SKIP_3) | instid1(VALU_DEP_4)
	v_div_fixup_f32 v29, v12, v33, 1.0
	v_fma_f32 v33, -v35, v32, v37
	v_add_co_u32 v12, vcc_lo, s12, v26
	v_add_co_ci_u32_e32 v13, vcc_lo, s13, v27, vcc_lo
	v_mul_f32_e32 v70, v28, v29
	s_delay_alu instid0(VALU_DEP_4)
	v_mul_f32_e32 v72, v33, v29
	v_mul_f32_e32 v71, v36, v29
	;; [unrolled: 1-line block ×3, first 2 shown]
	v_add_co_u32 v16, vcc_lo, s12, v16
	s_waitcnt vmcnt(4)
	v_mul_f32_e32 v76, v72, v59
	v_mul_f32_e64 v74, v70, -v59
	v_mul_f32_e64 v75, v60, -v72
	;; [unrolled: 1-line block ×3, first 2 shown]
	v_mul_f32_e32 v40, v72, v61
	v_mul_f32_e64 v32, v70, -v49
	s_delay_alu instid0(VALU_DEP_4) | instskip(SKIP_2) | instid1(VALU_DEP_3)
	v_dual_fmac_f32 v74, v58, v73 :: v_dual_fmac_f32 v75, v61, v71
	s_waitcnt vmcnt(2)
	v_dual_mul_f32 v41, v70, v48 :: v_dual_mul_f32 v28, v72, v57
	v_dual_mul_f32 v37, v70, v60 :: v_dual_fmac_f32 v32, v48, v73
	v_dual_mul_f32 v33, v70, v58 :: v_dual_fmac_f32 v36, v60, v73
	;; [unrolled: 1-line block ×3, first 2 shown]
	v_fma_f32 v60, -v55, v73, v75
	v_mul_f32_e64 v38, v70, -v57
	v_mul_f32_e64 v77, v58, -v72
	;; [unrolled: 1-line block ×3, first 2 shown]
	v_add_co_ci_u32_e32 v17, vcc_lo, s13, v17, vcc_lo
	v_dual_fmac_f32 v60, v54, v70 :: v_dual_fmac_f32 v41, v49, v73
	v_dual_fmac_f32 v76, v58, v71 :: v_dual_fmac_f32 v37, v61, v73
	v_fmac_f32_e32 v32, v46, v71
	v_fma_f32 v58, -v54, v73, v40
	s_delay_alu instid0(VALU_DEP_4) | instskip(SKIP_1) | instid1(VALU_DEP_4)
	v_dual_fmac_f32 v41, v47, v71 :: v_dual_fmac_f32 v38, v56, v73
	v_dual_fmac_f32 v33, v59, v73 :: v_dual_fmac_f32 v28, v56, v71
	v_fma_f32 v40, -v47, v72, v32
	s_delay_alu instid0(VALU_DEP_3)
	v_dual_fmac_f32 v41, v46, v72 :: v_dual_fmac_f32 v74, v44, v71
	v_fmac_f32_e32 v77, v59, v71
	v_fma_f32 v59, v55, -v70, v58
	s_clause 0x1
	global_store_b64 v[2:3], v[40:41], off
	global_store_b64 v[42:43], v[59:60], off
	global_load_b64 v[42:43], v[20:21], off
	v_dual_fmac_f32 v39, v57, v73 :: v_dual_fmac_f32 v36, v54, v71
	v_fmac_f32_e32 v37, v55, v71
	v_fmac_f32_e32 v29, v57, v71
	v_fma_f32 v57, -v44, v73, v76
	v_fma_f32 v56, -v45, v73, v77
	v_fmac_f32_e32 v33, v45, v71
	v_fma_f32 v36, -v55, v72, v36
	v_fmac_f32_e32 v37, v54, v72
	v_fma_f32 v55, v45, -v70, v57
	v_fmac_f32_e32 v56, v44, v70
	v_fma_f32 v32, -v45, v72, v74
	v_fmac_f32_e32 v33, v44, v72
	global_store_b64 v[16:17], v[38:39], off
	global_load_b64 v[44:45], v[12:13], off
	s_clause 0x1
	global_store_b64 v[4:5], v[36:37], off
	global_store_b64 v[50:51], v[55:56], off
	s_clause 0x1
	global_store_b64 v[6:7], v[32:33], off
	global_store_b64 v[52:53], v[28:29], off
	global_load_b64 v[52:53], v[18:19], off
	global_load_b64 v[50:51], v[14:15], off
	v_mul_f32_e32 v55, v70, v30
	v_mul_f32_e64 v28, v70, -v31
	v_mul_f32_e32 v29, v72, v49
	s_mov_b32 s0, exec_lo
	s_delay_alu instid0(VALU_DEP_2) | instskip(SKIP_1) | instid1(VALU_DEP_3)
	v_fmac_f32_e32 v28, v30, v73
	v_mul_f32_e64 v30, v48, -v72
	v_fmac_f32_e32 v29, v48, v71
	s_delay_alu instid0(VALU_DEP_3) | instskip(NEXT) | instid1(VALU_DEP_3)
	v_fmac_f32_e32 v28, v34, v71
	v_fmac_f32_e32 v30, v49, v71
	s_delay_alu instid0(VALU_DEP_3) | instskip(NEXT) | instid1(VALU_DEP_3)
	v_fma_f32 v29, -v46, v73, v29
	v_fma_f32 v54, -v35, v72, v28
	s_waitcnt vmcnt(5)
	v_mul_f32_e64 v48, -v72, v68
	v_fmac_f32_e32 v55, v31, v73
	v_mul_f32_e64 v31, v70, -v69
	s_delay_alu instid0(VALU_DEP_3) | instskip(NEXT) | instid1(VALU_DEP_3)
	v_fmac_f32_e32 v48, v69, v71
	v_fmac_f32_e32 v55, v35, v71
	v_fma_f32 v35, -v47, v73, v30
	s_delay_alu instid0(VALU_DEP_4) | instskip(NEXT) | instid1(VALU_DEP_3)
	v_fmac_f32_e32 v31, v68, v73
	v_fmac_f32_e32 v55, v34, v72
	v_fma_f32 v34, v47, -v70, v29
	v_mul_f32_e32 v47, v70, v68
	v_dual_fmac_f32 v35, v46, v70 :: v_dual_mul_f32 v46, v72, v69
	s_delay_alu instid0(VALU_DEP_2) | instskip(NEXT) | instid1(VALU_DEP_2)
	v_dual_mul_f32 v28, v55, v55 :: v_dual_fmac_f32 v47, v69, v73
	v_fmac_f32_e32 v46, v68, v71
	s_waitcnt vmcnt(4)
	v_fmac_f32_e32 v31, v66, v71
	v_fma_f32 v49, -v67, v73, v48
	v_dual_fmac_f32 v28, v54, v54 :: v_dual_fmac_f32 v47, v67, v71
	v_fma_f32 v56, -v66, v73, v46
	s_delay_alu instid0(VALU_DEP_4) | instskip(NEXT) | instid1(VALU_DEP_4)
	v_fma_f32 v46, -v67, v72, v31
	v_fmac_f32_e32 v49, v66, v70
	s_delay_alu instid0(VALU_DEP_4) | instskip(NEXT) | instid1(VALU_DEP_4)
	v_fmac_f32_e32 v47, v66, v72
	v_fma_f32 v48, v67, -v70, v56
	s_waitcnt vmcnt(3)
	v_fmac_f32_e32 v28, v42, v42
	s_delay_alu instid0(VALU_DEP_1)
	v_fmac_f32_e32 v28, v43, v43
	v_mul_f32_e64 v29, v54, -v55
	s_clause 0x1
	global_store_b64 v[22:23], v[54:55], off
	global_store_b64 v[24:25], v[34:35], off
	s_clause 0x1
	global_store_b64 v[9:10], v[46:47], off
	global_store_b64 v[64:65], v[48:49], off
                                        ; implicit-def: $vgpr22
	v_fmac_f32_e32 v29, v55, v54
	s_delay_alu instid0(VALU_DEP_1) | instskip(NEXT) | instid1(VALU_DEP_1)
	v_fmac_f32_e32 v29, v43, v42
	v_fma_f32 v30, v42, -v43, v29
	s_delay_alu instid0(VALU_DEP_1) | instskip(SKIP_1) | instid1(VALU_DEP_1)
	v_cmp_gt_f32_e32 vcc_lo, 0, v30
	v_cndmask_b32_e64 v29, v30, -v30, vcc_lo
	v_cmpx_ngt_f32_e32 v28, v29
	s_xor_b32 s24, exec_lo, s0
	s_cbranch_execz .LBB8_14
; %bb.11:                               ;   in Loop: Header=BB8_4 Depth=1
	v_mov_b32_e32 v22, 0
	s_mov_b32 s25, exec_lo
	v_cmpx_neq_f32_e32 0, v30
	s_cbranch_execz .LBB8_13
; %bb.12:                               ;   in Loop: Header=BB8_4 Depth=1
	v_div_scale_f32 v22, null, v29, v29, v28
	v_div_scale_f32 v25, vcc_lo, v28, v29, v28
	s_delay_alu instid0(VALU_DEP_2) | instskip(SKIP_2) | instid1(VALU_DEP_1)
	v_rcp_f32_e32 v23, v22
	s_waitcnt_depctr 0xfff
	v_fma_f32 v24, -v22, v23, 1.0
	v_fmac_f32_e32 v23, v24, v23
	s_delay_alu instid0(VALU_DEP_1) | instskip(NEXT) | instid1(VALU_DEP_1)
	v_mul_f32_e32 v24, v25, v23
	v_fma_f32 v30, -v22, v24, v25
	s_delay_alu instid0(VALU_DEP_1) | instskip(NEXT) | instid1(VALU_DEP_1)
	v_fmac_f32_e32 v24, v30, v23
	v_fma_f32 v22, -v22, v24, v25
	s_delay_alu instid0(VALU_DEP_1) | instskip(NEXT) | instid1(VALU_DEP_1)
	v_div_fmas_f32 v22, v22, v23, v24
	v_div_fixup_f32 v22, v22, v29, v28
	s_delay_alu instid0(VALU_DEP_1) | instskip(NEXT) | instid1(VALU_DEP_1)
	v_fma_f32 v22, v22, v22, 1.0
	v_mul_f32_e32 v23, 0x4f800000, v22
	v_cmp_gt_f32_e32 vcc_lo, 0xf800000, v22
	s_delay_alu instid0(VALU_DEP_2) | instskip(NEXT) | instid1(VALU_DEP_1)
	v_cndmask_b32_e32 v22, v22, v23, vcc_lo
	v_sqrt_f32_e32 v23, v22
	s_waitcnt_depctr 0xfff
	v_add_nc_u32_e32 v24, -1, v23
	v_add_nc_u32_e32 v25, 1, v23
	s_delay_alu instid0(VALU_DEP_2) | instskip(NEXT) | instid1(VALU_DEP_2)
	v_fma_f32 v28, -v24, v23, v22
	v_fma_f32 v30, -v25, v23, v22
	s_delay_alu instid0(VALU_DEP_2) | instskip(NEXT) | instid1(VALU_DEP_1)
	v_cmp_ge_f32_e64 s0, 0, v28
	v_cndmask_b32_e64 v23, v23, v24, s0
	s_delay_alu instid0(VALU_DEP_3) | instskip(NEXT) | instid1(VALU_DEP_1)
	v_cmp_lt_f32_e64 s0, 0, v30
	v_cndmask_b32_e64 v23, v23, v25, s0
	s_delay_alu instid0(VALU_DEP_1) | instskip(NEXT) | instid1(VALU_DEP_1)
	v_mul_f32_e32 v24, 0x37800000, v23
	v_cndmask_b32_e32 v23, v23, v24, vcc_lo
	v_cmp_class_f32_e64 vcc_lo, v22, 0x260
	s_delay_alu instid0(VALU_DEP_2) | instskip(NEXT) | instid1(VALU_DEP_1)
	v_cndmask_b32_e32 v22, v23, v22, vcc_lo
	v_mul_f32_e32 v22, v29, v22
.LBB8_13:                               ;   in Loop: Header=BB8_4 Depth=1
	s_or_b32 exec_lo, exec_lo, s25
                                        ; implicit-def: $vgpr28
                                        ; implicit-def: $vgpr29
.LBB8_14:                               ;   in Loop: Header=BB8_4 Depth=1
	s_and_not1_saveexec_b32 s24, s24
	s_cbranch_execz .LBB8_3
; %bb.15:                               ;   in Loop: Header=BB8_4 Depth=1
	v_div_scale_f32 v22, null, v28, v28, v29
	v_div_scale_f32 v25, vcc_lo, v29, v28, v29
	s_delay_alu instid0(VALU_DEP_2) | instskip(SKIP_2) | instid1(VALU_DEP_1)
	v_rcp_f32_e32 v23, v22
	s_waitcnt_depctr 0xfff
	v_fma_f32 v24, -v22, v23, 1.0
	v_fmac_f32_e32 v23, v24, v23
	s_delay_alu instid0(VALU_DEP_1) | instskip(NEXT) | instid1(VALU_DEP_1)
	v_mul_f32_e32 v24, v25, v23
	v_fma_f32 v30, -v22, v24, v25
	s_delay_alu instid0(VALU_DEP_1) | instskip(NEXT) | instid1(VALU_DEP_1)
	v_fmac_f32_e32 v24, v30, v23
	v_fma_f32 v22, -v22, v24, v25
	s_delay_alu instid0(VALU_DEP_1) | instskip(NEXT) | instid1(VALU_DEP_1)
	v_div_fmas_f32 v22, v22, v23, v24
	v_div_fixup_f32 v22, v22, v28, v29
	s_delay_alu instid0(VALU_DEP_1) | instskip(NEXT) | instid1(VALU_DEP_1)
	v_fma_f32 v22, v22, v22, 1.0
	v_mul_f32_e32 v23, 0x4f800000, v22
	v_cmp_gt_f32_e32 vcc_lo, 0xf800000, v22
	s_delay_alu instid0(VALU_DEP_2) | instskip(NEXT) | instid1(VALU_DEP_1)
	v_cndmask_b32_e32 v22, v22, v23, vcc_lo
	v_sqrt_f32_e32 v23, v22
	s_waitcnt_depctr 0xfff
	v_add_nc_u32_e32 v24, -1, v23
	v_add_nc_u32_e32 v25, 1, v23
	s_delay_alu instid0(VALU_DEP_2) | instskip(NEXT) | instid1(VALU_DEP_2)
	v_fma_f32 v29, -v24, v23, v22
	v_fma_f32 v30, -v25, v23, v22
	s_delay_alu instid0(VALU_DEP_2) | instskip(NEXT) | instid1(VALU_DEP_1)
	v_cmp_ge_f32_e64 s0, 0, v29
	v_cndmask_b32_e64 v23, v23, v24, s0
	s_delay_alu instid0(VALU_DEP_3) | instskip(NEXT) | instid1(VALU_DEP_1)
	v_cmp_lt_f32_e64 s0, 0, v30
	v_cndmask_b32_e64 v23, v23, v25, s0
	s_delay_alu instid0(VALU_DEP_1) | instskip(NEXT) | instid1(VALU_DEP_1)
	v_mul_f32_e32 v24, 0x37800000, v23
	v_cndmask_b32_e32 v23, v23, v24, vcc_lo
	v_cmp_class_f32_e64 vcc_lo, v22, 0x260
	s_delay_alu instid0(VALU_DEP_2) | instskip(NEXT) | instid1(VALU_DEP_1)
	v_cndmask_b32_e32 v22, v23, v22, vcc_lo
	v_mul_f32_e32 v22, v28, v22
	s_branch .LBB8_3
.LBB8_16:
	s_add_i32 s1, s16, -1
	s_mov_b32 s0, exec_lo
	s_mul_i32 s1, s1, s18
	s_delay_alu instid0(SALU_CYCLE_1) | instskip(SKIP_1) | instid1(SALU_CYCLE_1)
	v_add_nc_u32_e32 v2, s1, v1
	s_sub_i32 s20, s1, s18
	v_add_nc_u32_e32 v4, s20, v1
	s_delay_alu instid0(VALU_DEP_2) | instskip(NEXT) | instid1(VALU_DEP_2)
	v_ashrrev_i32_e32 v3, 31, v2
	v_ashrrev_i32_e32 v5, 31, v4
	s_delay_alu instid0(VALU_DEP_2) | instskip(NEXT) | instid1(VALU_DEP_2)
	v_lshlrev_b64 v[42:43], 3, v[2:3]
	v_lshlrev_b64 v[40:41], 3, v[4:5]
	s_waitcnt lgkmcnt(0)
	s_delay_alu instid0(VALU_DEP_2) | instskip(NEXT) | instid1(VALU_DEP_3)
	v_add_co_u32 v2, vcc_lo, s4, v42
	v_add_co_ci_u32_e32 v3, vcc_lo, s5, v43, vcc_lo
	s_delay_alu instid0(VALU_DEP_3) | instskip(NEXT) | instid1(VALU_DEP_4)
	v_add_co_u32 v24, vcc_lo, s6, v40
	v_add_co_ci_u32_e32 v25, vcc_lo, s7, v41, vcc_lo
	v_add_co_u32 v32, vcc_lo, s6, v42
	v_add_co_ci_u32_e32 v33, vcc_lo, s7, v43, vcc_lo
	v_mad_u64_u32 v[4:5], null, s22, s17, v[1:2]
	global_load_b64 v[38:39], v[2:3], off
	s_clause 0x1
	global_load_b64 v[36:37], v[24:25], off
	global_load_b64 v[30:31], v[32:33], off
	v_add_co_u32 v26, vcc_lo, s8, v40
	v_add_co_ci_u32_e32 v27, vcc_lo, s9, v41, vcc_lo
	v_add_co_u32 v28, vcc_lo, s8, v42
	v_add_nc_u32_e32 v14, s17, v4
	v_ashrrev_i32_e32 v5, 31, v4
	v_add_co_ci_u32_e32 v29, vcc_lo, s9, v43, vcc_lo
	v_add_co_u32 v16, vcc_lo, s10, v40
	s_delay_alu instid0(VALU_DEP_4) | instskip(NEXT) | instid1(VALU_DEP_4)
	v_ashrrev_i32_e32 v15, 31, v14
	v_lshlrev_b64 v[2:3], 3, v[4:5]
	v_add_co_ci_u32_e32 v17, vcc_lo, s11, v41, vcc_lo
	v_add_co_u32 v18, vcc_lo, s10, v42
	s_delay_alu instid0(VALU_DEP_4) | instskip(SKIP_3) | instid1(VALU_DEP_4)
	v_lshlrev_b64 v[4:5], 3, v[14:15]
	v_add_co_ci_u32_e32 v19, vcc_lo, s11, v43, vcc_lo
	v_add_co_u32 v8, vcc_lo, s12, v2
	v_add_co_ci_u32_e32 v9, vcc_lo, s13, v3, vcc_lo
	v_add_co_u32 v6, vcc_lo, s12, v4
	v_add_co_ci_u32_e32 v7, vcc_lo, s13, v5, vcc_lo
	s_clause 0x1
	global_load_b64 v[34:35], v[26:27], off
	global_load_b64 v[22:23], v[28:29], off
	s_clause 0x1
	global_load_b64 v[20:21], v[16:17], off
	global_load_b64 v[12:13], v[18:19], off
	;; [unrolled: 3-line block ×3, first 2 shown]
	s_waitcnt vmcnt(8)
	v_mul_f32_e64 v15, v38, -v39
	v_mul_f32_e32 v44, v39, v39
	s_delay_alu instid0(VALU_DEP_2) | instskip(SKIP_1) | instid1(VALU_DEP_1)
	v_fmac_f32_e32 v15, v39, v38
	s_waitcnt vmcnt(7)
	v_dual_fmac_f32 v44, v38, v38 :: v_dual_fmac_f32 v15, v37, v36
	s_delay_alu instid0(VALU_DEP_1) | instskip(NEXT) | instid1(VALU_DEP_2)
	v_fmac_f32_e32 v44, v36, v36
	v_fma_f32 v46, v36, -v37, v15
	s_delay_alu instid0(VALU_DEP_2) | instskip(NEXT) | instid1(VALU_DEP_2)
	v_fmac_f32_e32 v44, v37, v37
                                        ; implicit-def: $vgpr15
	v_cmp_gt_f32_e32 vcc_lo, 0, v46
	v_cndmask_b32_e64 v45, v46, -v46, vcc_lo
	s_delay_alu instid0(VALU_DEP_1)
	v_cmpx_ngt_f32_e32 v44, v45
	s_xor_b32 s4, exec_lo, s0
	s_cbranch_execz .LBB8_20
; %bb.17:
	v_mov_b32_e32 v15, 0
	s_mov_b32 s5, exec_lo
	v_cmpx_neq_f32_e32 0, v46
	s_cbranch_execz .LBB8_19
; %bb.18:
	v_div_scale_f32 v15, null, v45, v45, v44
	v_div_scale_f32 v48, vcc_lo, v44, v45, v44
	s_delay_alu instid0(VALU_DEP_2) | instskip(SKIP_2) | instid1(VALU_DEP_1)
	v_rcp_f32_e32 v46, v15
	s_waitcnt_depctr 0xfff
	v_fma_f32 v47, -v15, v46, 1.0
	v_fmac_f32_e32 v46, v47, v46
	s_delay_alu instid0(VALU_DEP_1) | instskip(NEXT) | instid1(VALU_DEP_1)
	v_mul_f32_e32 v47, v48, v46
	v_fma_f32 v49, -v15, v47, v48
	s_delay_alu instid0(VALU_DEP_1) | instskip(NEXT) | instid1(VALU_DEP_1)
	v_fmac_f32_e32 v47, v49, v46
	v_fma_f32 v15, -v15, v47, v48
	s_delay_alu instid0(VALU_DEP_1) | instskip(NEXT) | instid1(VALU_DEP_1)
	v_div_fmas_f32 v15, v15, v46, v47
	v_div_fixup_f32 v15, v15, v45, v44
	s_delay_alu instid0(VALU_DEP_1) | instskip(NEXT) | instid1(VALU_DEP_1)
	v_fma_f32 v15, v15, v15, 1.0
	v_mul_f32_e32 v44, 0x4f800000, v15
	v_cmp_gt_f32_e32 vcc_lo, 0xf800000, v15
	s_delay_alu instid0(VALU_DEP_2) | instskip(NEXT) | instid1(VALU_DEP_1)
	v_cndmask_b32_e32 v15, v15, v44, vcc_lo
	v_sqrt_f32_e32 v44, v15
	s_waitcnt_depctr 0xfff
	v_add_nc_u32_e32 v46, -1, v44
	v_add_nc_u32_e32 v47, 1, v44
	s_delay_alu instid0(VALU_DEP_2) | instskip(NEXT) | instid1(VALU_DEP_2)
	v_fma_f32 v48, -v46, v44, v15
	v_fma_f32 v49, -v47, v44, v15
	s_delay_alu instid0(VALU_DEP_2) | instskip(NEXT) | instid1(VALU_DEP_1)
	v_cmp_ge_f32_e64 s0, 0, v48
	v_cndmask_b32_e64 v44, v44, v46, s0
	s_delay_alu instid0(VALU_DEP_3) | instskip(NEXT) | instid1(VALU_DEP_1)
	v_cmp_lt_f32_e64 s0, 0, v49
	v_cndmask_b32_e64 v44, v44, v47, s0
	s_delay_alu instid0(VALU_DEP_1) | instskip(NEXT) | instid1(VALU_DEP_1)
	v_mul_f32_e32 v46, 0x37800000, v44
	v_cndmask_b32_e32 v44, v44, v46, vcc_lo
	v_cmp_class_f32_e64 vcc_lo, v15, 0x260
	s_delay_alu instid0(VALU_DEP_2) | instskip(NEXT) | instid1(VALU_DEP_1)
	v_cndmask_b32_e32 v15, v44, v15, vcc_lo
	v_mul_f32_e32 v15, v45, v15
.LBB8_19:
	s_or_b32 exec_lo, exec_lo, s5
                                        ; implicit-def: $vgpr44
                                        ; implicit-def: $vgpr45
.LBB8_20:
	s_and_not1_saveexec_b32 s4, s4
	s_cbranch_execz .LBB8_22
; %bb.21:
	v_div_scale_f32 v15, null, v44, v44, v45
	v_div_scale_f32 v48, vcc_lo, v45, v44, v45
	s_delay_alu instid0(VALU_DEP_2) | instskip(SKIP_2) | instid1(VALU_DEP_1)
	v_rcp_f32_e32 v46, v15
	s_waitcnt_depctr 0xfff
	v_fma_f32 v47, -v15, v46, 1.0
	v_fmac_f32_e32 v46, v47, v46
	s_delay_alu instid0(VALU_DEP_1) | instskip(NEXT) | instid1(VALU_DEP_1)
	v_mul_f32_e32 v47, v48, v46
	v_fma_f32 v49, -v15, v47, v48
	s_delay_alu instid0(VALU_DEP_1) | instskip(NEXT) | instid1(VALU_DEP_1)
	v_fmac_f32_e32 v47, v49, v46
	v_fma_f32 v15, -v15, v47, v48
	s_delay_alu instid0(VALU_DEP_1) | instskip(NEXT) | instid1(VALU_DEP_1)
	v_div_fmas_f32 v15, v15, v46, v47
	v_div_fixup_f32 v15, v15, v44, v45
	s_delay_alu instid0(VALU_DEP_1) | instskip(NEXT) | instid1(VALU_DEP_1)
	v_fma_f32 v15, v15, v15, 1.0
	v_mul_f32_e32 v45, 0x4f800000, v15
	v_cmp_gt_f32_e32 vcc_lo, 0xf800000, v15
	s_delay_alu instid0(VALU_DEP_2) | instskip(NEXT) | instid1(VALU_DEP_1)
	v_cndmask_b32_e32 v15, v15, v45, vcc_lo
	v_sqrt_f32_e32 v45, v15
	s_waitcnt_depctr 0xfff
	v_add_nc_u32_e32 v46, -1, v45
	v_add_nc_u32_e32 v47, 1, v45
	s_delay_alu instid0(VALU_DEP_2) | instskip(NEXT) | instid1(VALU_DEP_2)
	v_fma_f32 v48, -v46, v45, v15
	v_fma_f32 v49, -v47, v45, v15
	s_delay_alu instid0(VALU_DEP_2) | instskip(NEXT) | instid1(VALU_DEP_1)
	v_cmp_ge_f32_e64 s0, 0, v48
	v_cndmask_b32_e64 v45, v45, v46, s0
	s_delay_alu instid0(VALU_DEP_3) | instskip(NEXT) | instid1(VALU_DEP_1)
	v_cmp_lt_f32_e64 s0, 0, v49
	v_cndmask_b32_e64 v45, v45, v47, s0
	s_delay_alu instid0(VALU_DEP_1) | instskip(NEXT) | instid1(VALU_DEP_1)
	v_mul_f32_e32 v46, 0x37800000, v45
	v_cndmask_b32_e32 v45, v45, v46, vcc_lo
	v_cmp_class_f32_e64 vcc_lo, v15, 0x260
	s_delay_alu instid0(VALU_DEP_2) | instskip(NEXT) | instid1(VALU_DEP_1)
	v_cndmask_b32_e32 v15, v45, v15, vcc_lo
	v_mul_f32_e32 v15, v44, v15
.LBB8_22:
	s_or_b32 exec_lo, exec_lo, s4
	v_add_co_u32 v42, vcc_lo, s2, v42
	v_add_co_ci_u32_e32 v43, vcc_lo, s3, v43, vcc_lo
	v_add_co_u32 v40, vcc_lo, s2, v40
	v_add_co_ci_u32_e32 v41, vcc_lo, s3, v41, vcc_lo
	global_load_b64 v[44:45], v[42:43], off
	v_mul_f32_e32 v48, 0x4f800000, v15
	v_cmp_gt_f32_e32 vcc_lo, 0xf800000, v15
	global_load_b64 v[46:47], v[40:41], off
	v_cndmask_b32_e32 v15, v15, v48, vcc_lo
	s_delay_alu instid0(VALU_DEP_1) | instskip(SKIP_3) | instid1(VALU_DEP_2)
	v_sqrt_f32_e32 v48, v15
	s_waitcnt_depctr 0xfff
	v_add_nc_u32_e32 v49, -1, v48
	v_add_nc_u32_e32 v50, 1, v48
	v_fma_f32 v51, -v49, v48, v15
	s_delay_alu instid0(VALU_DEP_2) | instskip(NEXT) | instid1(VALU_DEP_2)
	v_fma_f32 v52, -v50, v48, v15
	v_cmp_ge_f32_e64 s0, 0, v51
	s_delay_alu instid0(VALU_DEP_1) | instskip(NEXT) | instid1(VALU_DEP_3)
	v_cndmask_b32_e64 v48, v48, v49, s0
	v_cmp_lt_f32_e64 s0, 0, v52
	s_delay_alu instid0(VALU_DEP_1) | instskip(SKIP_1) | instid1(VALU_DEP_1)
	v_cndmask_b32_e64 v48, v48, v50, s0
	s_sub_i32 s0, s20, s18
	v_mul_f32_e32 v49, 0x37800000, v48
	s_delay_alu instid0(VALU_DEP_1) | instskip(SKIP_1) | instid1(VALU_DEP_2)
	v_cndmask_b32_e32 v48, v48, v49, vcc_lo
	v_cmp_class_f32_e64 vcc_lo, v15, 0x260
	v_cndmask_b32_e32 v15, v48, v15, vcc_lo
	s_delay_alu instid0(VALU_DEP_1) | instskip(NEXT) | instid1(VALU_DEP_1)
	v_fma_f32 v48, v15, v15, 0
	v_div_scale_f32 v49, null, v48, v48, 1.0
	v_div_scale_f32 v52, vcc_lo, 1.0, v48, 1.0
	s_delay_alu instid0(VALU_DEP_2) | instskip(SKIP_2) | instid1(VALU_DEP_1)
	v_rcp_f32_e32 v50, v49
	s_waitcnt_depctr 0xfff
	v_fma_f32 v51, -v49, v50, 1.0
	v_fmac_f32_e32 v50, v51, v50
	s_delay_alu instid0(VALU_DEP_1) | instskip(NEXT) | instid1(VALU_DEP_1)
	v_mul_f32_e32 v51, v52, v50
	v_fma_f32 v53, -v49, v51, v52
	s_delay_alu instid0(VALU_DEP_1) | instskip(NEXT) | instid1(VALU_DEP_1)
	v_fmac_f32_e32 v51, v53, v50
	v_fma_f32 v49, -v49, v51, v52
	v_mul_f32_e32 v52, 0x80000000, v38
	s_delay_alu instid0(VALU_DEP_2) | instskip(SKIP_1) | instid1(VALU_DEP_3)
	v_div_fmas_f32 v49, v49, v50, v51
	v_dual_mul_f32 v51, 0x80000000, v36 :: v_dual_mul_f32 v50, 0x80000000, v37
	v_fma_f32 v52, -v39, v15, v52
	s_delay_alu instid0(VALU_DEP_3) | instskip(NEXT) | instid1(VALU_DEP_3)
	v_div_fixup_f32 v48, v49, v48, 1.0
	v_fma_f32 v49, -v37, v15, v51
	s_delay_alu instid0(VALU_DEP_4) | instskip(NEXT) | instid1(VALU_DEP_1)
	v_fmac_f32_e32 v50, v36, v15
	v_dual_mul_f32 v53, 0x80000000, v39 :: v_dual_mul_f32 v50, v50, v48
	v_mul_f32_e32 v51, v52, v48
	s_delay_alu instid0(VALU_DEP_2) | instskip(NEXT) | instid1(VALU_DEP_1)
	v_dual_mul_f32 v52, v49, v48 :: v_dual_fmac_f32 v53, v38, v15
	v_mul_f32_e32 v53, v53, v48
	s_waitcnt vmcnt(1)
	s_delay_alu instid0(VALU_DEP_2) | instskip(SKIP_1) | instid1(VALU_DEP_2)
	v_mul_f32_e64 v54, -v52, v44
	v_mul_f32_e32 v48, v52, v45
	v_fmac_f32_e32 v54, v45, v50
	v_mul_f32_e64 v15, v51, -v45
	v_mul_f32_e32 v49, v51, v44
	s_delay_alu instid0(VALU_DEP_2) | instskip(NEXT) | instid1(VALU_DEP_2)
	v_fmac_f32_e32 v15, v44, v53
	v_dual_fmac_f32 v48, v44, v50 :: v_dual_fmac_f32 v49, v45, v53
	s_waitcnt vmcnt(0)
	v_fma_f32 v45, -v47, v53, v54
	v_mul_f32_e64 v54, v12, -v52
	v_fmac_f32_e32 v15, v46, v50
	v_fma_f32 v44, -v46, v53, v48
	v_fmac_f32_e32 v49, v47, v50
	s_delay_alu instid0(VALU_DEP_4) | instskip(NEXT) | instid1(VALU_DEP_4)
	v_dual_fmac_f32 v45, v46, v51 :: v_dual_fmac_f32 v54, v13, v50
	v_fma_f32 v48, -v47, v52, v15
	s_delay_alu instid0(VALU_DEP_4) | instskip(NEXT) | instid1(VALU_DEP_4)
	v_fma_f32 v44, v47, -v51, v44
	v_fmac_f32_e32 v49, v46, v52
	s_clause 0x1
	global_store_b64 v[40:41], v[48:49], off
	global_store_b64 v[42:43], v[44:45], off
	global_load_b64 v[44:45], v[42:43], off
	v_mul_f32_e32 v49, v51, v38
	v_mul_f32_e64 v15, v30, -v52
	v_mul_f32_e64 v48, v51, -v39
	s_delay_alu instid0(VALU_DEP_3) | instskip(NEXT) | instid1(VALU_DEP_2)
	v_dual_mul_f32 v46, v52, v31 :: v_dual_fmac_f32 v49, v39, v53
	v_dual_fmac_f32 v15, v31, v50 :: v_dual_fmac_f32 v48, v38, v53
	s_delay_alu instid0(VALU_DEP_2) | instskip(SKIP_1) | instid1(VALU_DEP_4)
	v_fmac_f32_e32 v46, v30, v50
	v_mul_f32_e64 v39, v51, -v31
	v_fmac_f32_e32 v49, v37, v50
	s_delay_alu instid0(VALU_DEP_2) | instskip(NEXT) | instid1(VALU_DEP_2)
	v_dual_fmac_f32 v48, v36, v50 :: v_dual_fmac_f32 v39, v30, v53
	v_fmac_f32_e32 v49, v36, v52
	v_mul_f32_e32 v36, v52, v23
	v_fma_f32 v47, -v35, v53, v15
	v_fma_f32 v15, -v34, v53, v46
	v_fma_f32 v48, -v37, v52, v48
	s_delay_alu instid0(VALU_DEP_4) | instskip(NEXT) | instid1(VALU_DEP_4)
	v_fmac_f32_e32 v36, v22, v50
	v_fmac_f32_e32 v47, v34, v51
	s_delay_alu instid0(VALU_DEP_4)
	v_fma_f32 v46, v35, -v51, v15
	s_clause 0x1
	global_store_b64 v[24:25], v[48:49], off
	global_store_b64 v[32:33], v[46:47], off
	v_mul_f32_e32 v15, v47, v47
	global_load_b64 v[24:25], v[24:25], off
	v_fmac_f32_e32 v39, v34, v50
	v_mul_f32_e64 v49, v22, -v52
	v_fmac_f32_e32 v15, v46, v46
	s_delay_alu instid0(VALU_DEP_2) | instskip(NEXT) | instid1(VALU_DEP_2)
	v_fmac_f32_e32 v49, v23, v50
	v_div_scale_f32 v38, null, v15, v15, 1.0
	v_div_scale_f32 v33, vcc_lo, 1.0, v15, 1.0
	s_delay_alu instid0(VALU_DEP_2) | instskip(SKIP_2) | instid1(VALU_DEP_1)
	v_rcp_f32_e32 v37, v38
	s_waitcnt_depctr 0xfff
	v_fma_f32 v32, -v38, v37, 1.0
	v_dual_fmac_f32 v37, v32, v37 :: v_dual_mul_f32 v32, v51, v30
	s_delay_alu instid0(VALU_DEP_1) | instskip(SKIP_1) | instid1(VALU_DEP_2)
	v_fmac_f32_e32 v32, v31, v53
	v_fma_f32 v31, -v35, v52, v39
	v_fmac_f32_e32 v32, v35, v50
	s_delay_alu instid0(VALU_DEP_1) | instskip(SKIP_2) | instid1(VALU_DEP_1)
	v_fmac_f32_e32 v32, v34, v52
	s_waitcnt vmcnt(1)
	v_mul_f32_e64 v34, v47, -v44
	v_fmac_f32_e32 v34, v45, v46
	v_mul_f32_e32 v48, v33, v37
	s_delay_alu instid0(VALU_DEP_1) | instskip(NEXT) | instid1(VALU_DEP_1)
	v_fma_f32 v30, -v38, v48, v33
	v_fmac_f32_e32 v48, v30, v37
	v_fma_f32 v30, -v20, v53, v36
	v_fma_f32 v36, -v21, v53, v49
	s_delay_alu instid0(VALU_DEP_3) | instskip(NEXT) | instid1(VALU_DEP_3)
	v_fma_f32 v33, -v38, v48, v33
	v_fma_f32 v35, v21, -v51, v30
	s_delay_alu instid0(VALU_DEP_3)
	v_fmac_f32_e32 v36, v20, v51
	s_clause 0x1
	global_store_b64 v[26:27], v[31:32], off
	global_store_b64 v[28:29], v[35:36], off
	v_div_fmas_f32 v30, v33, v37, v48
	v_mul_f32_e32 v33, v47, v45
	v_mul_f32_e64 v48, v51, -v23
	global_load_b64 v[26:27], v[26:27], off
	v_add_nc_u32_e32 v32, s0, v1
	v_div_fixup_f32 v15, v30, v15, 1.0
	v_dual_fmac_f32 v33, v44, v46 :: v_dual_fmac_f32 v48, v22, v53
	s_sub_i32 s0, s0, s18
	s_cmp_lt_i32 s16, 5
	s_delay_alu instid0(VALU_DEP_1)
	v_dual_mul_f32 v29, v34, v15 :: v_dual_mul_f32 v28, v15, v33
	s_waitcnt vmcnt(1)
	v_dual_fmac_f32 v48, v20, v50 :: v_dual_mul_f32 v15, v25, v25
	v_ashrrev_i32_e32 v33, 31, v32
	global_store_b64 v[42:43], v[28:29], off
	global_load_b64 v[30:31], v[40:41], off
	v_fmac_f32_e32 v15, v24, v24
	v_lshlrev_b64 v[32:33], 3, v[32:33]
	s_delay_alu instid0(VALU_DEP_2) | instskip(NEXT) | instid1(VALU_DEP_2)
	v_div_scale_f32 v44, null, v15, v15, 1.0
	v_add_co_u32 v34, vcc_lo, s6, v32
	s_delay_alu instid0(VALU_DEP_3) | instskip(NEXT) | instid1(VALU_DEP_3)
	v_add_co_ci_u32_e32 v35, vcc_lo, s7, v33, vcc_lo
	v_rcp_f32_e32 v46, v44
	v_add_co_u32 v36, vcc_lo, s8, v32
	v_add_co_ci_u32_e32 v37, vcc_lo, s9, v33, vcc_lo
	v_add_co_u32 v38, vcc_lo, s10, v32
	v_add_co_ci_u32_e32 v39, vcc_lo, s11, v33, vcc_lo
	global_load_b64 v[34:35], v[34:35], off
	v_fma_f32 v45, -v44, v46, 1.0
	s_delay_alu instid0(VALU_DEP_1) | instskip(SKIP_1) | instid1(VALU_DEP_1)
	v_fmac_f32_e32 v46, v45, v46
	v_mul_f32_e32 v45, v51, v22
	v_fmac_f32_e32 v45, v23, v53
	s_waitcnt vmcnt(2)
	v_mul_f32_e32 v23, v29, v26
	v_mul_f32_e64 v29, v29, -v27
	s_delay_alu instid0(VALU_DEP_2) | instskip(NEXT) | instid1(VALU_DEP_2)
	v_fmac_f32_e32 v23, v27, v28
	v_fmac_f32_e32 v29, v26, v28
	s_waitcnt vmcnt(1)
	s_delay_alu instid0(VALU_DEP_1) | instskip(SKIP_2) | instid1(VALU_DEP_3)
	v_sub_f32_e32 v28, v30, v29
	v_div_scale_f32 v47, vcc_lo, 1.0, v15, 1.0
	v_sub_f32_e32 v23, v31, v23
	v_mul_f32_e64 v30, v25, -v28
	s_delay_alu instid0(VALU_DEP_3) | instskip(NEXT) | instid1(VALU_DEP_2)
	v_mul_f32_e32 v55, v47, v46
	v_fmac_f32_e32 v30, v23, v24
	s_delay_alu instid0(VALU_DEP_2) | instskip(NEXT) | instid1(VALU_DEP_1)
	v_fma_f32 v22, -v44, v55, v47
	v_fmac_f32_e32 v55, v22, v46
	v_fma_f32 v22, -v11, v53, v54
	s_delay_alu instid0(VALU_DEP_2) | instskip(SKIP_2) | instid1(VALU_DEP_4)
	v_fma_f32 v27, -v44, v55, v47
	v_fma_f32 v44, -v21, v52, v48
	v_mul_f32_e64 v48, v51, -v13
	v_fmac_f32_e32 v22, v10, v51
	s_delay_alu instid0(VALU_DEP_4) | instskip(NEXT) | instid1(VALU_DEP_3)
	v_div_fmas_f32 v27, v27, v46, v55
	v_dual_fmac_f32 v48, v12, v53 :: v_dual_mul_f32 v29, v25, v23
	s_delay_alu instid0(VALU_DEP_2) | instskip(NEXT) | instid1(VALU_DEP_2)
	v_div_fixup_f32 v15, v27, v15, 1.0
	v_dual_mul_f32 v49, v52, v13 :: v_dual_fmac_f32 v48, v10, v50
	s_delay_alu instid0(VALU_DEP_3)
	v_fmac_f32_e32 v29, v28, v24
	global_load_b64 v[23:24], v[36:37], off
	v_add_co_u32 v27, vcc_lo, s2, v32
	v_fmac_f32_e32 v49, v12, v50
	v_mul_f32_e32 v25, v15, v29
	v_fmac_f32_e32 v45, v21, v50
	v_add_co_ci_u32_e32 v28, vcc_lo, s3, v33, vcc_lo
	s_delay_alu instid0(VALU_DEP_4) | instskip(SKIP_3) | instid1(VALU_DEP_3)
	v_fma_f32 v26, -v10, v53, v49
	s_waitcnt vmcnt(1)
	v_mul_f32_e32 v33, v35, v35
	v_add_nc_u32_e32 v29, s0, v1
	v_fma_f32 v21, v11, -v51, v26
	v_mul_f32_e32 v26, v15, v30
	s_delay_alu instid0(VALU_DEP_4) | instskip(NEXT) | instid1(VALU_DEP_1)
	v_fmac_f32_e32 v33, v34, v34
	v_div_scale_f32 v1, null, v33, v33, 1.0
	s_delay_alu instid0(VALU_DEP_1) | instskip(SKIP_2) | instid1(VALU_DEP_1)
	v_rcp_f32_e32 v46, v1
	s_waitcnt vmcnt(0)
	v_mul_f32_e64 v54, v26, -v24
	v_dual_fmac_f32 v54, v23, v25 :: v_dual_fmac_f32 v45, v20, v52
	s_clause 0x1
	global_store_b64 v[16:17], v[44:45], off
	global_store_b64 v[18:19], v[21:22], off
	global_load_b64 v[15:16], v[38:39], off
	global_store_b64 v[40:41], v[25:26], off
	s_clause 0x1
	global_load_b64 v[17:18], v[42:43], off
	global_load_b64 v[19:20], v[27:28], off
	v_mul_f32_e32 v26, v26, v23
	v_mul_f32_e32 v44, v52, v5
	v_mul_f32_e64 v45, v4, -v52
	s_delay_alu instid0(VALU_DEP_3) | instskip(NEXT) | instid1(VALU_DEP_3)
	v_fmac_f32_e32 v26, v24, v25
	v_fmac_f32_e32 v44, v4, v50
	s_delay_alu instid0(VALU_DEP_3)
	v_fmac_f32_e32 v45, v5, v50
	s_waitcnt vmcnt(2)
	v_mad_u64_u32 v[21:22], null, s17, -3, v[14:15]
	v_fma_f32 v14, -v1, v46, 1.0
	s_waitcnt vmcnt(1)
	v_mul_f32_e32 v23, v18, v15
	v_mul_f32_e64 v18, v18, -v16
	s_waitcnt vmcnt(0)
	v_sub_f32_e32 v20, v20, v26
	v_sub_f32_e32 v19, v19, v54
	v_fmac_f32_e32 v46, v14, v46
	v_mul_f32_e32 v14, v51, v12
	v_ashrrev_i32_e32 v22, 31, v21
	v_fmac_f32_e32 v23, v16, v17
	v_fmac_f32_e32 v18, v15, v17
	s_delay_alu instid0(VALU_DEP_4) | instskip(NEXT) | instid1(VALU_DEP_4)
	v_fmac_f32_e32 v14, v13, v53
	v_lshlrev_b64 v[21:22], 3, v[21:22]
	s_delay_alu instid0(VALU_DEP_3) | instskip(NEXT) | instid1(VALU_DEP_3)
	v_dual_sub_f32 v12, v20, v23 :: v_dual_sub_f32 v13, v19, v18
	v_fmac_f32_e32 v14, v11, v50
	s_delay_alu instid0(VALU_DEP_3) | instskip(NEXT) | instid1(VALU_DEP_4)
	v_add_co_u32 v21, vcc_lo, s12, v21
	v_add_co_ci_u32_e32 v22, vcc_lo, s13, v22, vcc_lo
	s_delay_alu instid0(VALU_DEP_3) | instskip(SKIP_3) | instid1(VALU_DEP_3)
	v_fmac_f32_e32 v14, v10, v52
	v_ashrrev_i32_e32 v30, 31, v29
	v_mul_f32_e32 v17, v35, v12
	v_mul_f32_e64 v18, v35, -v13
	v_lshlrev_b64 v[29:30], 3, v[29:30]
	s_delay_alu instid0(VALU_DEP_3) | instskip(SKIP_1) | instid1(VALU_DEP_4)
	v_fmac_f32_e32 v17, v13, v34
	v_fma_f32 v13, -v11, v52, v48
	v_fmac_f32_e32 v18, v12, v34
	s_delay_alu instid0(VALU_DEP_4)
	v_add_co_u32 v31, vcc_lo, s2, v29
	v_add_co_ci_u32_e32 v32, vcc_lo, s3, v30, vcc_lo
	v_add_co_u32 v36, vcc_lo, s8, v29
	v_add_co_ci_u32_e32 v37, vcc_lo, s9, v30, vcc_lo
	v_add_co_u32 v38, vcc_lo, s6, v29
	v_add_co_u32 v29, s0, s10, v29
	v_add_co_ci_u32_e32 v39, vcc_lo, s7, v30, vcc_lo
	v_div_scale_f32 v47, vcc_lo, 1.0, v33, 1.0
	v_add_co_ci_u32_e64 v30, s0, s11, v30, s0
	global_store_b64 v[8:9], v[13:14], off
	global_load_b64 v[38:39], v[38:39], off
	global_load_b64 v[15:16], v[36:37], off
	;; [unrolled: 1-line block ×3, first 2 shown]
	v_mul_f32_e32 v49, v47, v46
	s_delay_alu instid0(VALU_DEP_1) | instskip(NEXT) | instid1(VALU_DEP_1)
	v_fma_f32 v55, -v1, v49, v47
	v_fmac_f32_e32 v49, v55, v46
	s_delay_alu instid0(VALU_DEP_1) | instskip(NEXT) | instid1(VALU_DEP_1)
	v_fma_f32 v1, -v1, v49, v47
	v_div_fmas_f32 v1, v1, v46, v49
	s_delay_alu instid0(VALU_DEP_1) | instskip(NEXT) | instid1(VALU_DEP_1)
	v_div_fixup_f32 v1, v1, v33, 1.0
	v_mul_f32_e32 v10, v1, v17
	v_mul_f32_e32 v11, v1, v18
	global_store_b64 v[27:28], v[10:11], off
	s_clause 0x1
	global_load_b64 v[12:13], v[31:32], off
	global_load_b64 v[17:18], v[40:41], off
	global_store_b64 v[6:7], v[44:45], off
	global_load_b64 v[6:7], v[21:22], off
	global_load_b64 v[19:20], v[42:43], off
	s_waitcnt vmcnt(6)
	v_mul_f32_e32 v1, v39, v39
	s_delay_alu instid0(VALU_DEP_1) | instskip(NEXT) | instid1(VALU_DEP_1)
	v_fmac_f32_e32 v1, v38, v38
	v_div_scale_f32 v14, null, v1, v1, 1.0
	v_div_scale_f32 v23, vcc_lo, 1.0, v1, 1.0
	s_delay_alu instid0(VALU_DEP_2) | instskip(SKIP_2) | instid1(VALU_DEP_1)
	v_rcp_f32_e32 v21, v14
	s_waitcnt_depctr 0xfff
	v_fma_f32 v22, -v14, v21, 1.0
	v_fmac_f32_e32 v21, v22, v21
	s_waitcnt vmcnt(5)
	v_mul_f32_e64 v22, v11, -v16
	v_mul_f32_e32 v11, v11, v15
	s_delay_alu instid0(VALU_DEP_3) | instskip(NEXT) | instid1(VALU_DEP_3)
	v_mul_f32_e32 v24, v23, v21
	v_fmac_f32_e32 v22, v15, v10
	s_delay_alu instid0(VALU_DEP_3) | instskip(SKIP_2) | instid1(VALU_DEP_3)
	v_fmac_f32_e32 v11, v16, v10
	s_waitcnt vmcnt(2)
	v_mul_f32_e64 v16, v18, -v9
	v_dual_sub_f32 v12, v12, v22 :: v_dual_mul_f32 v15, v18, v8
	s_delay_alu instid0(VALU_DEP_3)
	v_sub_f32_e32 v11, v13, v11
	s_waitcnt vmcnt(0)
	v_mul_f32_e64 v13, v20, -v7
	v_mul_f32_e32 v18, v20, v6
	v_fmac_f32_e32 v16, v8, v17
	v_fma_f32 v10, -v14, v24, v23
	v_fmac_f32_e32 v15, v9, v17
	v_fmac_f32_e32 v13, v6, v19
	s_delay_alu instid0(VALU_DEP_4) | instskip(NEXT) | instid1(VALU_DEP_4)
	v_dual_fmac_f32 v18, v7, v19 :: v_dual_sub_f32 v7, v12, v16
	v_fmac_f32_e32 v24, v10, v21
	s_delay_alu instid0(VALU_DEP_4) | instskip(NEXT) | instid1(VALU_DEP_3)
	v_sub_f32_e32 v6, v11, v15
	v_sub_f32_e32 v10, v7, v13
	s_delay_alu instid0(VALU_DEP_3) | instskip(NEXT) | instid1(VALU_DEP_3)
	v_fma_f32 v8, -v14, v24, v23
	v_sub_f32_e32 v9, v6, v18
	v_mul_f32_e64 v6, v51, -v5
	v_mul_f32_e32 v7, v51, v4
	v_mul_f32_e64 v12, v39, -v10
	s_delay_alu instid0(VALU_DEP_4) | instskip(NEXT) | instid1(VALU_DEP_4)
	v_mul_f32_e32 v11, v39, v9
	v_fmac_f32_e32 v6, v4, v53
	s_delay_alu instid0(VALU_DEP_4) | instskip(NEXT) | instid1(VALU_DEP_4)
	v_fmac_f32_e32 v7, v5, v53
	v_fmac_f32_e32 v12, v9, v38
	v_div_fmas_f32 v8, v8, v21, v24
	v_fmac_f32_e32 v11, v10, v38
	s_delay_alu instid0(VALU_DEP_2) | instskip(SKIP_2) | instid1(VALU_DEP_3)
	v_div_fixup_f32 v8, v8, v1, 1.0
	v_add_co_u32 v1, vcc_lo, s14, v2
	v_add_co_ci_u32_e32 v2, vcc_lo, s15, v3, vcc_lo
	v_mul_f32_e32 v3, v8, v11
	v_mul_f32_e32 v4, v8, v12
	global_store_b64 v[1:2], v[6:7], off
	global_store_b64 v[31:32], v[3:4], off
	s_cbranch_scc1 .LBB8_25
; %bb.23:
	s_add_i32 s4, s16, -5
	s_add_i32 s0, s16, -4
	v_mad_u64_u32 v[1:2], null, s17, s4, v[0:1]
	s_add_i32 s5, s16, -3
	s_delay_alu instid0(VALU_DEP_1)
	v_mad_u64_u32 v[2:3], null, s18, s0, v[0:1]
	v_mad_u64_u32 v[3:4], null, s18, s5, v[0:1]
	;; [unrolled: 1-line block ×4, first 2 shown]
	v_add_nc_u32_e32 v0, s1, v0
.LBB8_24:                               ; =>This Inner Loop Header: Depth=1
	s_delay_alu instid0(VALU_DEP_2)
	v_add_nc_u32_e32 v6, s19, v5
	v_add_nc_u32_e32 v8, s19, v2
	;; [unrolled: 1-line block ×5, first 2 shown]
	v_ashrrev_i32_e32 v7, 31, v6
	v_ashrrev_i32_e32 v9, 31, v8
	;; [unrolled: 1-line block ×5, first 2 shown]
	v_lshlrev_b64 v[6:7], 3, v[6:7]
	v_lshlrev_b64 v[8:9], 3, v[8:9]
	;; [unrolled: 1-line block ×4, first 2 shown]
	v_add_nc_u32_e32 v16, s19, v0
	v_lshlrev_b64 v[14:15], 3, v[14:15]
	v_add_co_u32 v18, vcc_lo, s2, v6
	v_add_co_ci_u32_e32 v19, vcc_lo, s3, v7, vcc_lo
	v_add_co_u32 v20, vcc_lo, s8, v6
	v_add_co_ci_u32_e32 v21, vcc_lo, s9, v7, vcc_lo
	;; [unrolled: 2-line block ×5, first 2 shown]
	v_add_co_u32 v24, vcc_lo, s12, v12
	v_ashrrev_i32_e32 v17, 31, v16
	v_add_co_ci_u32_e32 v25, vcc_lo, s13, v13, vcc_lo
	v_add_co_u32 v14, vcc_lo, s2, v14
	v_add_co_ci_u32_e32 v15, vcc_lo, s3, v15, vcc_lo
	v_add_co_u32 v12, vcc_lo, s14, v12
	v_lshlrev_b64 v[16:17], 3, v[16:17]
	v_add_co_ci_u32_e32 v13, vcc_lo, s15, v13, vcc_lo
	v_add_co_u32 v6, vcc_lo, s6, v6
	v_add_co_ci_u32_e32 v7, vcc_lo, s7, v7, vcc_lo
	s_delay_alu instid0(VALU_DEP_4)
	v_add_co_u32 v16, vcc_lo, s2, v16
	v_add_co_ci_u32_e32 v17, vcc_lo, s3, v17, vcc_lo
	global_load_b64 v[6:7], v[6:7], off
	global_load_b64 v[20:21], v[20:21], off
	global_load_b64 v[8:9], v[8:9], off
	global_load_b64 v[22:23], v[22:23], off
	global_load_b64 v[10:11], v[10:11], off
	global_load_b64 v[24:25], v[24:25], off
	s_clause 0x1
	global_load_b64 v[14:15], v[14:15], off
	global_load_b64 v[26:27], v[18:19], off
	;; [unrolled: 1-line block ×4, first 2 shown]
	v_subrev_nc_u32_e32 v1, s17, v1
	v_subrev_nc_u32_e32 v2, s18, v2
	v_subrev_nc_u32_e32 v3, s18, v3
	v_subrev_nc_u32_e32 v4, s18, v4
	v_subrev_nc_u32_e32 v0, s18, v0
	v_subrev_nc_u32_e32 v5, s18, v5
	s_add_i32 s0, s0, -1
	s_delay_alu instid0(SALU_CYCLE_1)
	s_cmp_lg_u32 s0, 0
	s_waitcnt vmcnt(9)
	v_mul_f32_e32 v28, v7, v7
	s_waitcnt vmcnt(7)
	v_mul_f32_e64 v29, v9, -v21
	v_mul_f32_e32 v9, v9, v20
	s_waitcnt vmcnt(5)
	v_mul_f32_e64 v30, v11, -v23
	;; [unrolled: 3-line block ×3, first 2 shown]
	v_mul_f32_e32 v15, v15, v24
	v_fmac_f32_e32 v9, v21, v8
	s_waitcnt vmcnt(0)
	v_mul_f32_e64 v33, v17, -v13
	v_dual_mul_f32 v17, v17, v12 :: v_dual_fmac_f32 v28, v6, v6
	v_dual_fmac_f32 v29, v20, v8 :: v_dual_fmac_f32 v30, v22, v10
	s_delay_alu instid0(VALU_DEP_3) | instskip(SKIP_1) | instid1(VALU_DEP_4)
	v_fmac_f32_e32 v33, v12, v16
	v_fmac_f32_e32 v15, v25, v14
	v_div_scale_f32 v32, null, v28, v28, 1.0
	v_fmac_f32_e32 v11, v23, v10
	v_fmac_f32_e32 v31, v24, v14
	v_div_scale_f32 v10, vcc_lo, 1.0, v28, 1.0
	s_delay_alu instid0(VALU_DEP_4) | instskip(SKIP_2) | instid1(VALU_DEP_1)
	v_rcp_f32_e32 v34, v32
	s_waitcnt_depctr 0xfff
	v_fma_f32 v8, -v32, v34, 1.0
	v_dual_fmac_f32 v17, v13, v16 :: v_dual_fmac_f32 v34, v8, v34
	v_sub_f32_e32 v8, v26, v29
	s_delay_alu instid0(VALU_DEP_1) | instskip(NEXT) | instid1(VALU_DEP_1)
	v_dual_sub_f32 v9, v27, v9 :: v_dual_sub_f32 v8, v8, v30
	v_sub_f32_e32 v8, v8, v31
	s_delay_alu instid0(VALU_DEP_1) | instskip(NEXT) | instid1(VALU_DEP_1)
	v_dual_sub_f32 v9, v9, v11 :: v_dual_sub_f32 v8, v8, v33
	v_sub_f32_e32 v9, v9, v15
	s_delay_alu instid0(VALU_DEP_1) | instskip(SKIP_1) | instid1(VALU_DEP_1)
	v_sub_f32_e32 v9, v9, v17
	v_mul_f32_e32 v11, v10, v34
	v_fma_f32 v12, -v32, v11, v10
	s_delay_alu instid0(VALU_DEP_1) | instskip(SKIP_1) | instid1(VALU_DEP_2)
	v_dual_fmac_f32 v11, v12, v34 :: v_dual_mul_f32 v12, v7, v9
	v_mul_f32_e64 v7, v7, -v8
	v_fma_f32 v10, -v32, v11, v10
	s_delay_alu instid0(VALU_DEP_3) | instskip(NEXT) | instid1(VALU_DEP_2)
	v_fmac_f32_e32 v12, v8, v6
	v_div_fmas_f32 v10, v10, v34, v11
	s_delay_alu instid0(VALU_DEP_1) | instskip(NEXT) | instid1(VALU_DEP_1)
	v_div_fixup_f32 v8, v10, v28, 1.0
	v_dual_fmac_f32 v7, v9, v6 :: v_dual_mul_f32 v6, v8, v12
	s_delay_alu instid0(VALU_DEP_1)
	v_mul_f32_e32 v7, v8, v7
	global_store_b64 v[18:19], v[6:7], off
	s_cbranch_scc1 .LBB8_24
.LBB8_25:
	s_nop 0
	s_sendmsg sendmsg(MSG_DEALLOC_VGPRS)
	s_endpgm
	.section	.rodata,"a",@progbits
	.p2align	6, 0x0
	.amdhsa_kernel _ZN9rocsparseL39gpsv_interleaved_batch_givens_qr_kernelILj128E21rocsparse_complex_numIfEEEviiiPT0_S4_S4_S4_S4_S4_S4_S4_
		.amdhsa_group_segment_fixed_size 0
		.amdhsa_private_segment_fixed_size 0
		.amdhsa_kernarg_size 80
		.amdhsa_user_sgpr_count 15
		.amdhsa_user_sgpr_dispatch_ptr 0
		.amdhsa_user_sgpr_queue_ptr 0
		.amdhsa_user_sgpr_kernarg_segment_ptr 1
		.amdhsa_user_sgpr_dispatch_id 0
		.amdhsa_user_sgpr_private_segment_size 0
		.amdhsa_wavefront_size32 1
		.amdhsa_uses_dynamic_stack 0
		.amdhsa_enable_private_segment 0
		.amdhsa_system_sgpr_workgroup_id_x 1
		.amdhsa_system_sgpr_workgroup_id_y 0
		.amdhsa_system_sgpr_workgroup_id_z 0
		.amdhsa_system_sgpr_workgroup_info 0
		.amdhsa_system_vgpr_workitem_id 0
		.amdhsa_next_free_vgpr 78
		.amdhsa_next_free_sgpr 26
		.amdhsa_reserve_vcc 1
		.amdhsa_float_round_mode_32 0
		.amdhsa_float_round_mode_16_64 0
		.amdhsa_float_denorm_mode_32 3
		.amdhsa_float_denorm_mode_16_64 3
		.amdhsa_dx10_clamp 1
		.amdhsa_ieee_mode 1
		.amdhsa_fp16_overflow 0
		.amdhsa_workgroup_processor_mode 1
		.amdhsa_memory_ordered 1
		.amdhsa_forward_progress 0
		.amdhsa_shared_vgpr_count 0
		.amdhsa_exception_fp_ieee_invalid_op 0
		.amdhsa_exception_fp_denorm_src 0
		.amdhsa_exception_fp_ieee_div_zero 0
		.amdhsa_exception_fp_ieee_overflow 0
		.amdhsa_exception_fp_ieee_underflow 0
		.amdhsa_exception_fp_ieee_inexact 0
		.amdhsa_exception_int_div_zero 0
	.end_amdhsa_kernel
	.section	.text._ZN9rocsparseL39gpsv_interleaved_batch_givens_qr_kernelILj128E21rocsparse_complex_numIfEEEviiiPT0_S4_S4_S4_S4_S4_S4_S4_,"axG",@progbits,_ZN9rocsparseL39gpsv_interleaved_batch_givens_qr_kernelILj128E21rocsparse_complex_numIfEEEviiiPT0_S4_S4_S4_S4_S4_S4_S4_,comdat
.Lfunc_end8:
	.size	_ZN9rocsparseL39gpsv_interleaved_batch_givens_qr_kernelILj128E21rocsparse_complex_numIfEEEviiiPT0_S4_S4_S4_S4_S4_S4_S4_, .Lfunc_end8-_ZN9rocsparseL39gpsv_interleaved_batch_givens_qr_kernelILj128E21rocsparse_complex_numIfEEEviiiPT0_S4_S4_S4_S4_S4_S4_S4_
                                        ; -- End function
	.section	.AMDGPU.csdata,"",@progbits
; Kernel info:
; codeLenInByte = 7380
; NumSgprs: 28
; NumVgprs: 78
; ScratchSize: 0
; MemoryBound: 0
; FloatMode: 240
; IeeeMode: 1
; LDSByteSize: 0 bytes/workgroup (compile time only)
; SGPRBlocks: 3
; VGPRBlocks: 9
; NumSGPRsForWavesPerEU: 28
; NumVGPRsForWavesPerEU: 78
; Occupancy: 16
; WaveLimiterHint : 0
; COMPUTE_PGM_RSRC2:SCRATCH_EN: 0
; COMPUTE_PGM_RSRC2:USER_SGPR: 15
; COMPUTE_PGM_RSRC2:TRAP_HANDLER: 0
; COMPUTE_PGM_RSRC2:TGID_X_EN: 1
; COMPUTE_PGM_RSRC2:TGID_Y_EN: 0
; COMPUTE_PGM_RSRC2:TGID_Z_EN: 0
; COMPUTE_PGM_RSRC2:TIDIG_COMP_CNT: 0
	.section	.text._ZN9rocsparseL19gpsv_strided_gatherILj256E21rocsparse_complex_numIdEEEviiiPKT0_PS3_,"axG",@progbits,_ZN9rocsparseL19gpsv_strided_gatherILj256E21rocsparse_complex_numIdEEEviiiPKT0_PS3_,comdat
	.globl	_ZN9rocsparseL19gpsv_strided_gatherILj256E21rocsparse_complex_numIdEEEviiiPKT0_PS3_ ; -- Begin function _ZN9rocsparseL19gpsv_strided_gatherILj256E21rocsparse_complex_numIdEEEviiiPKT0_PS3_
	.p2align	8
	.type	_ZN9rocsparseL19gpsv_strided_gatherILj256E21rocsparse_complex_numIdEEEviiiPKT0_PS3_,@function
_ZN9rocsparseL19gpsv_strided_gatherILj256E21rocsparse_complex_numIdEEEviiiPKT0_PS3_: ; @_ZN9rocsparseL19gpsv_strided_gatherILj256E21rocsparse_complex_numIdEEEviiiPKT0_PS3_
; %bb.0:
	s_clause 0x1
	s_load_b32 s2, s[0:1], 0x2c
	s_load_b128 s[4:7], s[0:1], 0x0
	s_waitcnt lgkmcnt(0)
	s_and_b32 s2, s2, 0xffff
	s_cmp_gt_i32 s4, 0
	v_mad_u64_u32 v[1:2], null, s15, s2, v[0:1]
	s_cselect_b32 s2, -1, 0
	s_delay_alu instid0(VALU_DEP_1) | instskip(SKIP_1) | instid1(SALU_CYCLE_1)
	v_cmp_gt_i32_e32 vcc_lo, s5, v1
	s_and_b32 s2, vcc_lo, s2
	s_and_saveexec_b32 s3, s2
	s_cbranch_execz .LBB9_3
; %bb.1:
	s_load_b128 s[0:3], s[0:1], 0x10
	v_mov_b32_e32 v3, v1
	.p2align	6
.LBB9_2:                                ; =>This Inner Loop Header: Depth=1
	v_ashrrev_i32_e32 v2, 31, v1
	s_add_i32 s4, s4, -1
	s_delay_alu instid0(SALU_CYCLE_1) | instskip(NEXT) | instid1(VALU_DEP_1)
	s_cmp_lg_u32 s4, 0
	v_lshlrev_b64 v[4:5], 4, v[1:2]
	v_add_nc_u32_e32 v1, s6, v1
	s_waitcnt lgkmcnt(0)
	s_delay_alu instid0(VALU_DEP_2) | instskip(NEXT) | instid1(VALU_DEP_3)
	v_add_co_u32 v4, vcc_lo, s0, v4
	v_add_co_ci_u32_e32 v5, vcc_lo, s1, v5, vcc_lo
	global_load_b128 v[5:8], v[4:5], off
	v_ashrrev_i32_e32 v4, 31, v3
	s_delay_alu instid0(VALU_DEP_1) | instskip(SKIP_1) | instid1(VALU_DEP_2)
	v_lshlrev_b64 v[9:10], 4, v[3:4]
	v_add_nc_u32_e32 v3, s5, v3
	v_add_co_u32 v9, vcc_lo, s2, v9
	s_delay_alu instid0(VALU_DEP_3)
	v_add_co_ci_u32_e32 v10, vcc_lo, s3, v10, vcc_lo
	s_waitcnt vmcnt(0)
	global_store_b128 v[9:10], v[5:8], off
	s_cbranch_scc1 .LBB9_2
.LBB9_3:
	s_nop 0
	s_sendmsg sendmsg(MSG_DEALLOC_VGPRS)
	s_endpgm
	.section	.rodata,"a",@progbits
	.p2align	6, 0x0
	.amdhsa_kernel _ZN9rocsparseL19gpsv_strided_gatherILj256E21rocsparse_complex_numIdEEEviiiPKT0_PS3_
		.amdhsa_group_segment_fixed_size 0
		.amdhsa_private_segment_fixed_size 0
		.amdhsa_kernarg_size 288
		.amdhsa_user_sgpr_count 15
		.amdhsa_user_sgpr_dispatch_ptr 0
		.amdhsa_user_sgpr_queue_ptr 0
		.amdhsa_user_sgpr_kernarg_segment_ptr 1
		.amdhsa_user_sgpr_dispatch_id 0
		.amdhsa_user_sgpr_private_segment_size 0
		.amdhsa_wavefront_size32 1
		.amdhsa_uses_dynamic_stack 0
		.amdhsa_enable_private_segment 0
		.amdhsa_system_sgpr_workgroup_id_x 1
		.amdhsa_system_sgpr_workgroup_id_y 0
		.amdhsa_system_sgpr_workgroup_id_z 0
		.amdhsa_system_sgpr_workgroup_info 0
		.amdhsa_system_vgpr_workitem_id 0
		.amdhsa_next_free_vgpr 11
		.amdhsa_next_free_sgpr 16
		.amdhsa_reserve_vcc 1
		.amdhsa_float_round_mode_32 0
		.amdhsa_float_round_mode_16_64 0
		.amdhsa_float_denorm_mode_32 3
		.amdhsa_float_denorm_mode_16_64 3
		.amdhsa_dx10_clamp 1
		.amdhsa_ieee_mode 1
		.amdhsa_fp16_overflow 0
		.amdhsa_workgroup_processor_mode 1
		.amdhsa_memory_ordered 1
		.amdhsa_forward_progress 0
		.amdhsa_shared_vgpr_count 0
		.amdhsa_exception_fp_ieee_invalid_op 0
		.amdhsa_exception_fp_denorm_src 0
		.amdhsa_exception_fp_ieee_div_zero 0
		.amdhsa_exception_fp_ieee_overflow 0
		.amdhsa_exception_fp_ieee_underflow 0
		.amdhsa_exception_fp_ieee_inexact 0
		.amdhsa_exception_int_div_zero 0
	.end_amdhsa_kernel
	.section	.text._ZN9rocsparseL19gpsv_strided_gatherILj256E21rocsparse_complex_numIdEEEviiiPKT0_PS3_,"axG",@progbits,_ZN9rocsparseL19gpsv_strided_gatherILj256E21rocsparse_complex_numIdEEEviiiPKT0_PS3_,comdat
.Lfunc_end9:
	.size	_ZN9rocsparseL19gpsv_strided_gatherILj256E21rocsparse_complex_numIdEEEviiiPKT0_PS3_, .Lfunc_end9-_ZN9rocsparseL19gpsv_strided_gatherILj256E21rocsparse_complex_numIdEEEviiiPKT0_PS3_
                                        ; -- End function
	.section	.AMDGPU.csdata,"",@progbits
; Kernel info:
; codeLenInByte = 200
; NumSgprs: 18
; NumVgprs: 11
; ScratchSize: 0
; MemoryBound: 0
; FloatMode: 240
; IeeeMode: 1
; LDSByteSize: 0 bytes/workgroup (compile time only)
; SGPRBlocks: 2
; VGPRBlocks: 1
; NumSGPRsForWavesPerEU: 18
; NumVGPRsForWavesPerEU: 11
; Occupancy: 16
; WaveLimiterHint : 0
; COMPUTE_PGM_RSRC2:SCRATCH_EN: 0
; COMPUTE_PGM_RSRC2:USER_SGPR: 15
; COMPUTE_PGM_RSRC2:TRAP_HANDLER: 0
; COMPUTE_PGM_RSRC2:TGID_X_EN: 1
; COMPUTE_PGM_RSRC2:TGID_Y_EN: 0
; COMPUTE_PGM_RSRC2:TGID_Z_EN: 0
; COMPUTE_PGM_RSRC2:TIDIG_COMP_CNT: 0
	.section	.text._ZN9rocsparseL44gpsv_interleaved_batch_householder_qr_kernelILj256E21rocsparse_complex_numIdEEEviiiPT0_S4_S4_S4_S4_S4_S4_S4_S4_,"axG",@progbits,_ZN9rocsparseL44gpsv_interleaved_batch_householder_qr_kernelILj256E21rocsparse_complex_numIdEEEviiiPT0_S4_S4_S4_S4_S4_S4_S4_S4_,comdat
	.globl	_ZN9rocsparseL44gpsv_interleaved_batch_householder_qr_kernelILj256E21rocsparse_complex_numIdEEEviiiPT0_S4_S4_S4_S4_S4_S4_S4_S4_ ; -- Begin function _ZN9rocsparseL44gpsv_interleaved_batch_householder_qr_kernelILj256E21rocsparse_complex_numIdEEEviiiPT0_S4_S4_S4_S4_S4_S4_S4_S4_
	.p2align	8
	.type	_ZN9rocsparseL44gpsv_interleaved_batch_householder_qr_kernelILj256E21rocsparse_complex_numIdEEEviiiPT0_S4_S4_S4_S4_S4_S4_S4_S4_,@function
_ZN9rocsparseL44gpsv_interleaved_batch_householder_qr_kernelILj256E21rocsparse_complex_numIdEEEviiiPT0_S4_S4_S4_S4_S4_S4_S4_S4_: ; @_ZN9rocsparseL44gpsv_interleaved_batch_householder_qr_kernelILj256E21rocsparse_complex_numIdEEEviiiPT0_S4_S4_S4_S4_S4_S4_S4_S4_
; %bb.0:
	s_clause 0x1
	s_load_b32 s2, s[0:1], 0x64
	s_load_b128 s[8:11], s[0:1], 0x0
	s_waitcnt lgkmcnt(0)
	s_and_b32 s2, s2, 0xffff
	s_delay_alu instid0(SALU_CYCLE_1) | instskip(SKIP_2) | instid1(VALU_DEP_1)
	s_mul_i32 s5, s15, s2
	s_mov_b32 s2, exec_lo
	v_add_nc_u32_e32 v1, s5, v0
	v_cmpx_gt_i32_e64 s9, v1
	s_cbranch_execz .LBB10_32
; %bb.1:
	s_clause 0x3
	s_load_b64 s[6:7], s[0:1], 0x50
	s_load_b128 s[12:15], s[0:1], 0x40
	s_load_b128 s[16:19], s[0:1], 0x20
	s_load_b64 s[24:25], s[0:1], 0x30
	s_add_i32 s11, s8, -1
	s_cmp_lt_i32 s8, 2
	s_cbranch_scc1 .LBB10_19
; %bb.2:
	s_load_b128 s[20:23], s[0:1], 0x10
	v_dual_mov_b32 v88, v0 :: v_dual_add_nc_u32 v83, s9, v0
	v_lshl_add_u32 v84, s9, 1, v0
	v_add_nc_u32_e32 v85, s10, v0
	v_lshl_add_u32 v86, s10, 1, v0
	v_mov_b32_e32 v87, v0
	s_mov_b32 s26, s11
	s_branch .LBB10_4
.LBB10_3:                               ;   in Loop: Header=BB10_4 Depth=1
	s_or_b32 exec_lo, exec_lo, s28
	v_add_nc_u32_e32 v83, s9, v83
	v_add_nc_u32_e32 v84, s9, v84
	;; [unrolled: 1-line block ×6, first 2 shown]
	s_add_i32 s26, s26, -1
	s_delay_alu instid0(SALU_CYCLE_1)
	s_cmp_eq_u32 s26, 0
	s_cbranch_scc1 .LBB10_19
.LBB10_4:                               ; =>This Inner Loop Header: Depth=1
	s_waitcnt vmcnt(0)
	v_add_nc_u32_e32 v1, s5, v85
	v_add_nc_u32_e32 v3, s5, v83
	s_cmp_lg_u32 s26, 1
	s_cselect_b32 s27, -1, 0
	s_delay_alu instid0(VALU_DEP_2) | instskip(SKIP_1) | instid1(VALU_DEP_1)
	v_ashrrev_i32_e32 v2, 31, v1
	s_cmp_eq_u32 s26, 1
	v_lshlrev_b64 v[1:2], 4, v[1:2]
	s_waitcnt lgkmcnt(0)
	s_delay_alu instid0(VALU_DEP_1) | instskip(NEXT) | instid1(VALU_DEP_2)
	v_add_co_u32 v57, vcc_lo, s22, v1
	v_add_co_ci_u32_e32 v58, vcc_lo, s23, v2, vcc_lo
	v_add_co_u32 v59, vcc_lo, s16, v1
	v_add_co_ci_u32_e32 v60, vcc_lo, s17, v2, vcc_lo
	;; [unrolled: 2-line block ×4, first 2 shown]
	v_mov_b32_e32 v1, 0
	v_mov_b32_e32 v2, 0
	v_ashrrev_i32_e32 v4, 31, v3
	v_add_nc_u32_e32 v55, s5, v86
	s_delay_alu instid0(VALU_DEP_3) | instskip(NEXT) | instid1(VALU_DEP_3)
	v_dual_mov_b32 v10, v2 :: v_dual_add_nc_u32 v53, s5, v84
	v_lshlrev_b64 v[49:50], 4, v[3:4]
	v_dual_mov_b32 v4, v2 :: v_dual_mov_b32 v3, v1
	v_dual_mov_b32 v12, v2 :: v_dual_mov_b32 v9, v1
	v_mov_b32_e32 v26, v2
	s_delay_alu instid0(VALU_DEP_4)
	v_add_co_u32 v63, vcc_lo, s6, v49
	v_add_co_ci_u32_e32 v64, vcc_lo, s7, v50, vcc_lo
	global_load_b128 v[37:40], v[57:58], off
	global_load_b128 v[21:24], v[59:60], off
	;; [unrolled: 1-line block ×5, first 2 shown]
	v_dual_mov_b32 v11, v1 :: v_dual_mov_b32 v28, v2
	v_dual_mov_b32 v25, v1 :: v_dual_mov_b32 v30, v2
	;; [unrolled: 1-line block ×7, first 2 shown]
	v_mov_b32_e32 v41, v1
	v_mov_b32_e32 v43, v1
	s_cbranch_scc1 .LBB10_6
; %bb.5:                                ;   in Loop: Header=BB10_4 Depth=1
	v_ashrrev_i32_e32 v56, 31, v55
	v_ashrrev_i32_e32 v54, 31, v53
	s_delay_alu instid0(VALU_DEP_2) | instskip(NEXT) | instid1(VALU_DEP_2)
	v_lshlrev_b64 v[1:2], 4, v[55:56]
	v_lshlrev_b64 v[25:26], 4, v[53:54]
	s_delay_alu instid0(VALU_DEP_2) | instskip(NEXT) | instid1(VALU_DEP_3)
	v_add_co_u32 v3, vcc_lo, s20, v1
	v_add_co_ci_u32_e32 v4, vcc_lo, s21, v2, vcc_lo
	v_add_co_u32 v9, vcc_lo, s22, v1
	v_add_co_ci_u32_e32 v10, vcc_lo, s23, v2, vcc_lo
	v_add_co_u32 v11, vcc_lo, s16, v1
	v_add_co_ci_u32_e32 v12, vcc_lo, s17, v2, vcc_lo
	global_load_b128 v[41:44], v[3:4], off
	v_add_co_u32 v3, vcc_lo, s18, v1
	v_add_co_ci_u32_e32 v4, vcc_lo, s19, v2, vcc_lo
	v_add_co_u32 v1, vcc_lo, s24, v1
	v_add_co_ci_u32_e32 v2, vcc_lo, s25, v2, vcc_lo
	;; [unrolled: 2-line block ×3, first 2 shown]
	global_load_b128 v[33:36], v[9:10], off
	global_load_b128 v[29:32], v[11:12], off
	;; [unrolled: 1-line block ×5, first 2 shown]
.LBB10_6:                               ;   in Loop: Header=BB10_4 Depth=1
	s_waitcnt vmcnt(5)
	s_delay_alu instid0(VALU_DEP_1) | instskip(SKIP_1) | instid1(VALU_DEP_2)
	v_mul_f64 v[45:46], v[43:44], -v[43:44]
	v_mul_f64 v[47:48], v[41:42], v[43:44]
	v_fma_f64 v[45:46], v[41:42], v[41:42], v[45:46]
	s_delay_alu instid0(VALU_DEP_2) | instskip(SKIP_1) | instid1(VALU_DEP_2)
	v_fma_f64 v[47:48], v[43:44], v[41:42], v[47:48]
	s_waitcnt vmcnt(4)
	v_fma_f64 v[45:46], v[37:38], v[37:38], v[45:46]
	s_delay_alu instid0(VALU_DEP_2) | instskip(NEXT) | instid1(VALU_DEP_2)
	v_fma_f64 v[47:48], v[39:40], v[37:38], v[47:48]
	v_fma_f64 v[73:74], -v[39:40], v[39:40], v[45:46]
	s_delay_alu instid0(VALU_DEP_2) | instskip(NEXT) | instid1(VALU_DEP_2)
	v_fma_f64 v[75:76], v[37:38], v[39:40], v[47:48]
	v_cmp_neq_f64_e32 vcc_lo, 0, v[73:74]
	s_delay_alu instid0(VALU_DEP_2) | instskip(NEXT) | instid1(VALU_DEP_1)
	v_cmp_neq_f64_e64 s2, 0, v[75:76]
	s_or_b32 s2, vcc_lo, s2
	s_delay_alu instid0(SALU_CYCLE_1)
	s_and_saveexec_b32 s28, s2
	s_cbranch_execz .LBB10_3
; %bb.7:                                ;   in Loop: Header=BB10_4 Depth=1
	v_add_nc_u32_e32 v45, s5, v87
	s_mov_b32 s3, exec_lo
                                        ; implicit-def: $vgpr79_vgpr80
	s_delay_alu instid0(VALU_DEP_1) | instskip(NEXT) | instid1(VALU_DEP_1)
	v_ashrrev_i32_e32 v46, 31, v45
	v_lshlrev_b64 v[51:52], 4, v[45:46]
	s_delay_alu instid0(VALU_DEP_1) | instskip(NEXT) | instid1(VALU_DEP_2)
	v_add_co_u32 v67, vcc_lo, s16, v51
	v_add_co_ci_u32_e32 v68, vcc_lo, s17, v52, vcc_lo
	global_load_b128 v[45:48], v[67:68], off
	s_waitcnt vmcnt(0)
	v_fma_f64 v[69:70], v[45:46], v[45:46], v[73:74]
	v_fma_f64 v[71:72], v[47:48], v[45:46], v[75:76]
	s_delay_alu instid0(VALU_DEP_2) | instskip(NEXT) | instid1(VALU_DEP_2)
	v_fma_f64 v[69:70], -v[47:48], v[47:48], v[69:70]
	v_fma_f64 v[81:82], v[45:46], v[47:48], v[71:72]
	s_delay_alu instid0(VALU_DEP_2) | instskip(NEXT) | instid1(VALU_DEP_2)
	v_cmp_gt_f64_e32 vcc_lo, 0, v[69:70]
	v_cmp_gt_f64_e64 s2, 0, v[81:82]
	v_xor_b32_e32 v54, 0x80000000, v70
	v_xor_b32_e32 v56, 0x80000000, v82
	s_delay_alu instid0(VALU_DEP_2) | instskip(NEXT) | instid1(VALU_DEP_2)
	v_cndmask_b32_e32 v72, v70, v54, vcc_lo
	v_cndmask_b32_e64 v78, v82, v56, s2
	v_cndmask_b32_e32 v71, v69, v69, vcc_lo
	v_cndmask_b32_e64 v77, v81, v81, s2
	s_delay_alu instid0(VALU_DEP_1)
	v_cmpx_ngt_f64_e32 v[71:72], v[77:78]
	s_xor_b32 s3, exec_lo, s3
	s_cbranch_execz .LBB10_11
; %bb.8:                                ;   in Loop: Header=BB10_4 Depth=1
	v_mov_b32_e32 v79, 0
	v_mov_b32_e32 v80, 0
	s_mov_b32 s4, exec_lo
	v_cmpx_neq_f64_e32 0, v[81:82]
	s_cbranch_execz .LBB10_10
; %bb.9:                                ;   in Loop: Header=BB10_4 Depth=1
	v_div_scale_f64 v[79:80], null, v[77:78], v[77:78], v[71:72]
	v_div_scale_f64 v[91:92], vcc_lo, v[71:72], v[77:78], v[71:72]
	s_delay_alu instid0(VALU_DEP_2) | instskip(SKIP_2) | instid1(VALU_DEP_1)
	v_rcp_f64_e32 v[81:82], v[79:80]
	s_waitcnt_depctr 0xfff
	v_fma_f64 v[89:90], -v[79:80], v[81:82], 1.0
	v_fma_f64 v[81:82], v[81:82], v[89:90], v[81:82]
	s_delay_alu instid0(VALU_DEP_1) | instskip(NEXT) | instid1(VALU_DEP_1)
	v_fma_f64 v[89:90], -v[79:80], v[81:82], 1.0
	v_fma_f64 v[81:82], v[81:82], v[89:90], v[81:82]
	s_delay_alu instid0(VALU_DEP_1) | instskip(NEXT) | instid1(VALU_DEP_1)
	v_mul_f64 v[89:90], v[91:92], v[81:82]
	v_fma_f64 v[79:80], -v[79:80], v[89:90], v[91:92]
	s_delay_alu instid0(VALU_DEP_1) | instskip(NEXT) | instid1(VALU_DEP_1)
	v_div_fmas_f64 v[79:80], v[79:80], v[81:82], v[89:90]
	v_div_fixup_f64 v[71:72], v[79:80], v[77:78], v[71:72]
	s_delay_alu instid0(VALU_DEP_1) | instskip(NEXT) | instid1(VALU_DEP_1)
	v_fma_f64 v[71:72], v[71:72], v[71:72], 1.0
	v_cmp_gt_f64_e32 vcc_lo, 0x10000000, v[71:72]
	v_cndmask_b32_e64 v54, 0, 1, vcc_lo
	s_delay_alu instid0(VALU_DEP_1) | instskip(NEXT) | instid1(VALU_DEP_1)
	v_lshlrev_b32_e32 v54, 8, v54
	v_ldexp_f64 v[71:72], v[71:72], v54
	v_cndmask_b32_e64 v54, 0, 0xffffff80, vcc_lo
	s_delay_alu instid0(VALU_DEP_2) | instskip(SKIP_4) | instid1(VALU_DEP_1)
	v_rsq_f64_e32 v[79:80], v[71:72]
	v_cmp_class_f64_e64 vcc_lo, v[71:72], 0x260
	s_waitcnt_depctr 0xfff
	v_mul_f64 v[81:82], v[71:72], v[79:80]
	v_mul_f64 v[79:80], v[79:80], 0.5
	v_fma_f64 v[89:90], -v[79:80], v[81:82], 0.5
	s_delay_alu instid0(VALU_DEP_1) | instskip(SKIP_1) | instid1(VALU_DEP_2)
	v_fma_f64 v[81:82], v[81:82], v[89:90], v[81:82]
	v_fma_f64 v[79:80], v[79:80], v[89:90], v[79:80]
	v_fma_f64 v[89:90], -v[81:82], v[81:82], v[71:72]
	s_delay_alu instid0(VALU_DEP_1) | instskip(NEXT) | instid1(VALU_DEP_1)
	v_fma_f64 v[81:82], v[89:90], v[79:80], v[81:82]
	v_fma_f64 v[89:90], -v[81:82], v[81:82], v[71:72]
	s_delay_alu instid0(VALU_DEP_1) | instskip(NEXT) | instid1(VALU_DEP_1)
	v_fma_f64 v[79:80], v[89:90], v[79:80], v[81:82]
	v_ldexp_f64 v[79:80], v[79:80], v54
	s_delay_alu instid0(VALU_DEP_1) | instskip(NEXT) | instid1(VALU_DEP_1)
	v_dual_cndmask_b32 v71, v79, v71 :: v_dual_cndmask_b32 v72, v80, v72
	v_mul_f64 v[79:80], v[77:78], v[71:72]
.LBB10_10:                              ;   in Loop: Header=BB10_4 Depth=1
	s_or_b32 exec_lo, exec_lo, s4
                                        ; implicit-def: $vgpr71_vgpr72
                                        ; implicit-def: $vgpr77_vgpr78
.LBB10_11:                              ;   in Loop: Header=BB10_4 Depth=1
	s_and_not1_saveexec_b32 s3, s3
	s_cbranch_execz .LBB10_13
; %bb.12:                               ;   in Loop: Header=BB10_4 Depth=1
	v_div_scale_f64 v[79:80], null, v[71:72], v[71:72], v[77:78]
	v_div_scale_f64 v[91:92], vcc_lo, v[77:78], v[71:72], v[77:78]
	s_delay_alu instid0(VALU_DEP_2) | instskip(SKIP_2) | instid1(VALU_DEP_1)
	v_rcp_f64_e32 v[81:82], v[79:80]
	s_waitcnt_depctr 0xfff
	v_fma_f64 v[89:90], -v[79:80], v[81:82], 1.0
	v_fma_f64 v[81:82], v[81:82], v[89:90], v[81:82]
	s_delay_alu instid0(VALU_DEP_1) | instskip(NEXT) | instid1(VALU_DEP_1)
	v_fma_f64 v[89:90], -v[79:80], v[81:82], 1.0
	v_fma_f64 v[81:82], v[81:82], v[89:90], v[81:82]
	s_delay_alu instid0(VALU_DEP_1) | instskip(NEXT) | instid1(VALU_DEP_1)
	v_mul_f64 v[89:90], v[91:92], v[81:82]
	v_fma_f64 v[79:80], -v[79:80], v[89:90], v[91:92]
	s_delay_alu instid0(VALU_DEP_1) | instskip(NEXT) | instid1(VALU_DEP_1)
	v_div_fmas_f64 v[79:80], v[79:80], v[81:82], v[89:90]
	v_div_fixup_f64 v[77:78], v[79:80], v[71:72], v[77:78]
	s_delay_alu instid0(VALU_DEP_1) | instskip(NEXT) | instid1(VALU_DEP_1)
	v_fma_f64 v[77:78], v[77:78], v[77:78], 1.0
	v_cmp_gt_f64_e32 vcc_lo, 0x10000000, v[77:78]
	v_cndmask_b32_e64 v54, 0, 1, vcc_lo
	s_delay_alu instid0(VALU_DEP_1) | instskip(NEXT) | instid1(VALU_DEP_1)
	v_lshlrev_b32_e32 v54, 8, v54
	v_ldexp_f64 v[77:78], v[77:78], v54
	v_cndmask_b32_e64 v54, 0, 0xffffff80, vcc_lo
	s_delay_alu instid0(VALU_DEP_2) | instskip(SKIP_4) | instid1(VALU_DEP_1)
	v_rsq_f64_e32 v[79:80], v[77:78]
	v_cmp_class_f64_e64 vcc_lo, v[77:78], 0x260
	s_waitcnt_depctr 0xfff
	v_mul_f64 v[81:82], v[77:78], v[79:80]
	v_mul_f64 v[79:80], v[79:80], 0.5
	v_fma_f64 v[89:90], -v[79:80], v[81:82], 0.5
	s_delay_alu instid0(VALU_DEP_1) | instskip(SKIP_1) | instid1(VALU_DEP_2)
	v_fma_f64 v[81:82], v[81:82], v[89:90], v[81:82]
	v_fma_f64 v[79:80], v[79:80], v[89:90], v[79:80]
	v_fma_f64 v[89:90], -v[81:82], v[81:82], v[77:78]
	s_delay_alu instid0(VALU_DEP_1) | instskip(NEXT) | instid1(VALU_DEP_1)
	v_fma_f64 v[81:82], v[89:90], v[79:80], v[81:82]
	v_fma_f64 v[89:90], -v[81:82], v[81:82], v[77:78]
	s_delay_alu instid0(VALU_DEP_1) | instskip(NEXT) | instid1(VALU_DEP_1)
	v_fma_f64 v[79:80], v[89:90], v[79:80], v[81:82]
	v_ldexp_f64 v[79:80], v[79:80], v54
	s_delay_alu instid0(VALU_DEP_1) | instskip(NEXT) | instid1(VALU_DEP_1)
	v_dual_cndmask_b32 v77, v79, v77 :: v_dual_cndmask_b32 v78, v80, v78
	v_mul_f64 v[79:80], v[71:72], v[77:78]
.LBB10_13:                              ;   in Loop: Header=BB10_4 Depth=1
	s_or_b32 exec_lo, exec_lo, s3
	s_delay_alu instid0(VALU_DEP_1) | instskip(SKIP_1) | instid1(VALU_DEP_2)
	v_add_f64 v[71:72], v[79:80], -v[69:70]
	v_add_f64 v[69:70], v[69:70], v[79:80]
	v_mul_f64 v[71:72], v[71:72], 0.5
	s_delay_alu instid0(VALU_DEP_2) | instskip(NEXT) | instid1(VALU_DEP_2)
	v_mul_f64 v[69:70], v[69:70], 0.5
	v_cmp_gt_f64_e32 vcc_lo, 0x10000000, v[71:72]
	s_delay_alu instid0(VALU_DEP_2) | instskip(SKIP_1) | instid1(VALU_DEP_2)
	v_cmp_gt_f64_e64 s3, 0x10000000, v[69:70]
	v_cndmask_b32_e64 v54, 0, 1, vcc_lo
	v_cndmask_b32_e64 v56, 0, 1, s3
	s_delay_alu instid0(VALU_DEP_2) | instskip(NEXT) | instid1(VALU_DEP_1)
	v_lshlrev_b32_e32 v54, 8, v54
	v_ldexp_f64 v[71:72], v[71:72], v54
	s_delay_alu instid0(VALU_DEP_3) | instskip(NEXT) | instid1(VALU_DEP_1)
	v_lshlrev_b32_e32 v54, 8, v56
	v_ldexp_f64 v[69:70], v[69:70], v54
	v_cndmask_b32_e64 v54, 0, 0xffffff80, vcc_lo
	s_delay_alu instid0(VALU_DEP_4) | instskip(SKIP_1) | instid1(VALU_DEP_3)
	v_rsq_f64_e32 v[77:78], v[71:72]
	v_cmp_class_f64_e64 vcc_lo, v[71:72], 0x260
	v_rsq_f64_e32 v[79:80], v[69:70]
	s_waitcnt_depctr 0xfff
	v_mul_f64 v[81:82], v[71:72], v[77:78]
	v_mul_f64 v[77:78], v[77:78], 0.5
	v_mul_f64 v[89:90], v[69:70], v[79:80]
	v_mul_f64 v[79:80], v[79:80], 0.5
	s_delay_alu instid0(VALU_DEP_3) | instskip(NEXT) | instid1(VALU_DEP_2)
	v_fma_f64 v[91:92], -v[77:78], v[81:82], 0.5
	v_fma_f64 v[93:94], -v[79:80], v[89:90], 0.5
	s_delay_alu instid0(VALU_DEP_2) | instskip(SKIP_1) | instid1(VALU_DEP_3)
	v_fma_f64 v[81:82], v[81:82], v[91:92], v[81:82]
	v_fma_f64 v[77:78], v[77:78], v[91:92], v[77:78]
	;; [unrolled: 1-line block ×4, first 2 shown]
	s_delay_alu instid0(VALU_DEP_4) | instskip(NEXT) | instid1(VALU_DEP_3)
	v_fma_f64 v[91:92], -v[81:82], v[81:82], v[71:72]
	v_fma_f64 v[93:94], -v[89:90], v[89:90], v[69:70]
	s_delay_alu instid0(VALU_DEP_2) | instskip(NEXT) | instid1(VALU_DEP_2)
	v_fma_f64 v[81:82], v[91:92], v[77:78], v[81:82]
	v_fma_f64 v[89:90], v[93:94], v[79:80], v[89:90]
	s_delay_alu instid0(VALU_DEP_2) | instskip(NEXT) | instid1(VALU_DEP_2)
	v_fma_f64 v[91:92], -v[81:82], v[81:82], v[71:72]
	v_fma_f64 v[93:94], -v[89:90], v[89:90], v[69:70]
	s_delay_alu instid0(VALU_DEP_2) | instskip(NEXT) | instid1(VALU_DEP_2)
	v_fma_f64 v[77:78], v[91:92], v[77:78], v[81:82]
	v_fma_f64 v[79:80], v[93:94], v[79:80], v[89:90]
	s_delay_alu instid0(VALU_DEP_2) | instskip(SKIP_2) | instid1(VALU_DEP_2)
	v_ldexp_f64 v[77:78], v[77:78], v54
	v_cndmask_b32_e64 v54, 0, 0xffffff80, s3
	v_cmp_class_f64_e64 s3, v[69:70], 0x260
	v_ldexp_f64 v[79:80], v[79:80], v54
	s_delay_alu instid0(VALU_DEP_4) | instskip(NEXT) | instid1(VALU_DEP_1)
	v_dual_cndmask_b32 v77, v77, v71 :: v_dual_cndmask_b32 v54, v78, v72
                                        ; implicit-def: $vgpr71_vgpr72
	v_xor_b32_e32 v56, 0x80000000, v54
	s_delay_alu instid0(VALU_DEP_3) | instskip(NEXT) | instid1(VALU_DEP_4)
	v_cndmask_b32_e64 v80, v80, v70, s3
	v_cndmask_b32_e64 v79, v79, v69, s3
                                        ; implicit-def: $vgpr69_vgpr70
	s_delay_alu instid0(VALU_DEP_3)
	v_cndmask_b32_e64 v78, v54, v56, s2
	s_mov_b32 s2, exec_lo
	v_cmpx_nlt_f64_e32 0, v[45:46]
	s_xor_b32 s2, exec_lo, s2
; %bb.14:                               ;   in Loop: Header=BB10_4 Depth=1
	v_add_f64 v[69:70], v[45:46], -v[79:80]
	v_add_f64 v[71:72], v[47:48], -v[77:78]
                                        ; implicit-def: $vgpr79_vgpr80
                                        ; implicit-def: $vgpr77_vgpr78
; %bb.15:                               ;   in Loop: Header=BB10_4 Depth=1
	s_and_not1_saveexec_b32 s2, s2
; %bb.16:                               ;   in Loop: Header=BB10_4 Depth=1
	v_add_f64 v[69:70], v[45:46], v[79:80]
	v_add_f64 v[71:72], v[47:48], v[77:78]
; %bb.17:                               ;   in Loop: Header=BB10_4 Depth=1
	s_or_b32 exec_lo, exec_lo, s2
	s_delay_alu instid0(VALU_DEP_1) | instskip(NEXT) | instid1(VALU_DEP_3)
	v_mul_f64 v[77:78], v[71:72], v[71:72]
	v_mul_f64 v[79:80], v[69:70], v[71:72]
	v_mul_f64 v[113:114], v[71:72], -v[37:38]
	v_mul_f64 v[123:124], v[43:44], v[71:72]
	s_delay_alu instid0(VALU_DEP_4) | instskip(SKIP_2) | instid1(VALU_DEP_3)
	v_fma_f64 v[81:82], v[69:70], v[69:70], v[77:78]
	v_mul_f64 v[77:78], v[71:72], -v[71:72]
	v_fma_f64 v[97:98], v[71:72], v[69:70], v[79:80]
	v_div_scale_f64 v[79:80], null, v[81:82], v[81:82], 1.0
	s_delay_alu instid0(VALU_DEP_3) | instskip(NEXT) | instid1(VALU_DEP_3)
	v_fma_f64 v[99:100], v[69:70], v[69:70], v[77:78]
	v_add_f64 v[101:102], v[75:76], v[97:98]
	s_delay_alu instid0(VALU_DEP_3) | instskip(NEXT) | instid1(VALU_DEP_2)
	v_rcp_f64_e32 v[75:76], v[79:80]
	v_add_f64 v[103:104], v[73:74], v[99:100]
	s_delay_alu instid0(VALU_DEP_2) | instskip(SKIP_4) | instid1(VALU_DEP_1)
	v_mul_f64 v[73:74], v[101:102], v[101:102]
	s_waitcnt_depctr 0xfff
	v_fma_f64 v[77:78], -v[79:80], v[75:76], 1.0
	v_fma_f64 v[105:106], v[103:104], v[103:104], v[73:74]
	v_add_nc_u32_e32 v73, s5, v88
	v_ashrrev_i32_e32 v74, 31, v73
	s_delay_alu instid0(VALU_DEP_1) | instskip(NEXT) | instid1(VALU_DEP_1)
	v_lshlrev_b64 v[109:110], 4, v[73:74]
	v_add_co_u32 v111, vcc_lo, s12, v109
	s_delay_alu instid0(VALU_DEP_2)
	v_add_co_ci_u32_e32 v112, vcc_lo, s13, v110, vcc_lo
	v_div_scale_f64 v[93:94], vcc_lo, 1.0, v[81:82], 1.0
	v_fma_f64 v[77:78], v[75:76], v[77:78], v[75:76]
	v_div_scale_f64 v[107:108], null, v[105:106], v[105:106], 1.0
	global_load_b128 v[73:76], v[111:112], off
	v_fma_f64 v[89:90], -v[79:80], v[77:78], 1.0
	v_rcp_f64_e32 v[91:92], v[107:108]
	s_delay_alu instid0(VALU_DEP_1) | instskip(SKIP_3) | instid1(VALU_DEP_2)
	v_fma_f64 v[77:78], v[77:78], v[89:90], v[77:78]
	s_waitcnt_depctr 0xfff
	v_fma_f64 v[89:90], -v[107:108], v[91:92], 1.0
	v_mul_f64 v[95:96], v[93:94], v[77:78]
	v_fma_f64 v[89:90], v[91:92], v[89:90], v[91:92]
	s_delay_alu instid0(VALU_DEP_2) | instskip(SKIP_2) | instid1(VALU_DEP_4)
	v_fma_f64 v[79:80], -v[79:80], v[95:96], v[93:94]
	v_mul_f64 v[93:94], v[39:40], v[71:72]
	v_mul_f64 v[71:72], v[71:72], -v[41:42]
	v_fma_f64 v[91:92], -v[107:108], v[89:90], 1.0
	s_delay_alu instid0(VALU_DEP_4)
	v_div_fmas_f64 v[95:96], v[79:80], v[77:78], v[95:96]
	v_add_co_u32 v115, vcc_lo, s18, v51
	v_add_co_ci_u32_e32 v116, vcc_lo, s19, v52, vcc_lo
	v_div_scale_f64 v[117:118], vcc_lo, 1.0, v[105:106], 1.0
	v_fma_f64 v[119:120], v[89:90], v[91:92], v[89:90]
	global_load_b128 v[77:80], v[115:116], off
	v_fma_f64 v[93:94], v[37:38], v[69:70], v[93:94]
	v_div_fixup_f64 v[81:82], v[95:96], v[81:82], 1.0
	v_fma_f64 v[95:96], v[39:40], v[69:70], v[113:114]
	v_add_co_u32 v113, s2, s24, v51
	s_delay_alu instid0(VALU_DEP_1)
	v_add_co_ci_u32_e64 v114, s2, s25, v52, s2
	v_mul_f64 v[51:52], 0x80000000, v[97:98]
	v_mul_f64 v[121:122], v[117:118], v[119:120]
	v_add_f64 v[97:98], v[97:98], v[97:98]
	global_load_b128 v[89:92], v[113:114], off
	v_mul_f64 v[93:94], v[93:94], v[81:82]
	v_mul_f64 v[95:96], v[95:96], v[81:82]
	v_fma_f64 v[125:126], v[99:100], 2.0, v[51:52]
	v_fma_f64 v[51:52], -v[107:108], v[121:122], v[117:118]
	v_fma_f64 v[107:108], v[41:42], v[69:70], v[123:124]
	v_fma_f64 v[69:70], v[43:44], v[69:70], v[71:72]
	;; [unrolled: 1-line block ×5, first 2 shown]
	v_mul_f64 v[127:128], v[101:102], -v[125:126]
	v_div_fmas_f64 v[119:120], v[51:52], v[119:120], v[121:122]
	v_add_co_u32 v121, vcc_lo, s12, v49
	v_add_co_ci_u32_e32 v122, vcc_lo, s13, v50, vcc_lo
	v_add_co_u32 v129, vcc_lo, s14, v109
	v_add_co_ci_u32_e32 v130, vcc_lo, s15, v110, vcc_lo
	v_mul_f64 v[51:52], v[69:70], v[81:82]
	global_load_b128 v[69:72], v[121:122], off
	v_mul_f64 v[49:50], v[107:108], v[81:82]
	global_load_b128 v[97:100], v[129:130], off
	s_waitcnt vmcnt(4)
	v_fma_f64 v[107:108], v[95:96], v[13:14], v[75:76]
	v_fma_f64 v[81:82], -v[95:96], v[39:40], v[117:118]
	v_fma_f64 v[37:38], v[93:94], v[39:40], v[37:38]
	v_fma_f64 v[117:118], v[93:94], v[13:14], v[73:74]
	v_mul_f64 v[39:40], v[101:102], v[123:124]
	v_fma_f64 v[101:102], v[123:124], v[103:104], v[127:128]
	v_div_fixup_f64 v[105:106], v[119:120], v[105:106], 1.0
	v_fma_f64 v[107:108], v[93:94], v[15:16], v[107:108]
	v_fma_f64 v[37:38], v[51:52], v[41:42], v[37:38]
	v_fma_f64 v[117:118], -v[95:96], v[15:16], v[117:118]
	v_fma_f64 v[41:42], v[49:50], v[41:42], v[81:82]
	v_fma_f64 v[39:40], v[125:126], v[103:104], v[39:40]
	v_fma_f64 v[125:126], v[93:94], v[93:94], 1.0
	v_fma_f64 v[81:82], v[51:52], v[25:26], v[107:108]
	v_mul_f64 v[107:108], v[105:106], v[101:102]
	v_fma_f64 v[37:38], v[49:50], v[43:44], v[37:38]
	v_fma_f64 v[101:102], v[49:50], v[25:26], v[117:118]
	v_fma_f64 v[41:42], -v[51:52], v[43:44], v[41:42]
	v_fma_f64 v[43:44], v[49:50], v[27:28], v[81:82]
	v_mul_f64 v[81:82], v[105:106], v[39:40]
	v_fma_f64 v[105:106], v[95:96], v[93:94], 0
	v_fma_f64 v[39:40], -v[51:52], v[27:28], v[101:102]
	v_mul_f64 v[101:102], v[107:108], -v[37:38]
	v_mul_f64 v[103:104], v[107:108], v[41:42]
	v_mul_f64 v[117:118], v[107:108], -v[43:44]
	v_fma_f64 v[105:106], v[93:94], v[95:96], v[105:106]
	v_mul_f64 v[119:120], v[107:108], v[39:40]
	v_fma_f64 v[41:42], v[41:42], v[81:82], v[101:102]
	v_fma_f64 v[103:104], v[37:38], v[81:82], v[103:104]
	;; [unrolled: 1-line block ×4, first 2 shown]
	s_waitcnt vmcnt(3)
	v_fma_f64 v[123:124], v[95:96], v[21:22], v[79:80]
	v_fma_f64 v[117:118], v[93:94], v[21:22], v[77:78]
	;; [unrolled: 1-line block ×3, first 2 shown]
	v_add_f64 v[101:102], v[45:46], -v[41:42]
	v_add_f64 v[103:104], v[47:48], -v[103:104]
	v_fma_f64 v[119:120], -v[95:96], v[95:96], v[125:126]
	v_add_f64 v[41:42], v[73:74], -v[37:38]
	v_fma_f64 v[105:106], v[49:50], v[51:52], v[105:106]
	v_fma_f64 v[47:48], v[93:94], v[23:24], v[123:124]
	s_waitcnt vmcnt(2)
	v_fma_f64 v[45:46], v[95:96], v[17:18], v[91:92]
	v_fma_f64 v[73:74], v[93:94], v[17:18], v[89:90]
	v_add_f64 v[43:44], v[75:76], -v[39:40]
	v_fma_f64 v[75:76], -v[95:96], v[23:24], v[117:118]
	v_fma_f64 v[125:126], -v[39:40], v[93:94], v[15:16]
	v_fma_f64 v[117:118], v[49:50], v[49:50], v[119:120]
	v_mul_f64 v[119:120], v[105:106], v[105:106]
	v_fma_f64 v[47:48], v[51:52], v[33:34], v[47:48]
	v_fma_f64 v[45:46], v[93:94], v[19:20], v[45:46]
	v_fma_f64 v[73:74], -v[95:96], v[19:20], v[73:74]
	global_store_b128 v[111:112], v[41:44], off
	v_fma_f64 v[75:76], v[49:50], v[33:34], v[75:76]
	v_fma_f64 v[117:118], -v[51:52], v[51:52], v[117:118]
	v_fma_f64 v[47:48], v[49:50], v[35:36], v[47:48]
	v_fma_f64 v[45:46], v[51:52], v[29:30], v[45:46]
	s_waitcnt vmcnt(0)
	v_fma_f64 v[41:42], v[95:96], v[69:70], v[99:100]
	v_fma_f64 v[43:44], v[93:94], v[69:70], v[97:98]
	;; [unrolled: 1-line block ×3, first 2 shown]
	v_fma_f64 v[73:74], -v[51:52], v[35:36], v[75:76]
	v_fma_f64 v[111:112], v[117:118], v[117:118], v[119:120]
	v_fma_f64 v[75:76], v[49:50], v[31:32], v[45:46]
	v_mul_f64 v[45:46], v[107:108], -v[47:48]
	v_fma_f64 v[119:120], v[93:94], v[71:72], v[41:42]
	v_fma_f64 v[71:72], -v[95:96], v[71:72], v[43:44]
	v_fma_f64 v[69:70], -v[51:52], v[31:32], v[69:70]
	v_mul_f64 v[43:44], v[107:108], v[73:74]
	v_mul_f64 v[123:124], v[107:108], -v[75:76]
	v_fma_f64 v[41:42], v[73:74], v[81:82], v[45:46]
	v_div_scale_f64 v[73:74], null, v[111:112], v[111:112], 1.0
	v_fma_f64 v[71:72], v[49:50], v[9:10], v[71:72]
	v_fma_f64 v[45:46], v[47:48], v[81:82], v[43:44]
	v_mul_f64 v[47:48], v[107:108], v[69:70]
	v_fma_f64 v[43:44], v[69:70], v[81:82], v[123:124]
	v_fma_f64 v[69:70], v[51:52], v[9:10], v[119:120]
	v_rcp_f64_e32 v[123:124], v[73:74]
	s_delay_alu instid0(VALU_DEP_3) | instskip(NEXT) | instid1(VALU_DEP_2)
	v_fma_f64 v[47:48], v[75:76], v[81:82], v[47:48]
	v_fma_f64 v[119:120], v[49:50], v[11:12], v[69:70]
	v_fma_f64 v[69:70], -v[51:52], v[11:12], v[71:72]
	s_waitcnt_depctr 0xfff
	v_fma_f64 v[75:76], -v[73:74], v[123:124], 1.0
	v_add_f64 v[15:16], v[91:92], -v[47:48]
	s_delay_alu instid0(VALU_DEP_2) | instskip(SKIP_2) | instid1(VALU_DEP_2)
	v_fma_f64 v[71:72], v[123:124], v[75:76], v[123:124]
	v_mul_f64 v[75:76], v[107:108], -v[119:120]
	v_mul_f64 v[107:108], v[107:108], v[69:70]
	v_fma_f64 v[69:70], v[69:70], v[81:82], v[75:76]
	s_delay_alu instid0(VALU_DEP_4) | instskip(NEXT) | instid1(VALU_DEP_1)
	v_fma_f64 v[75:76], -v[73:74], v[71:72], 1.0
	v_fma_f64 v[123:124], v[71:72], v[75:76], v[71:72]
	v_div_scale_f64 v[75:76], vcc_lo, 1.0, v[111:112], 1.0
	v_fma_f64 v[71:72], v[119:120], v[81:82], v[107:108]
	v_add_co_u32 v119, s2, s6, v109
	s_delay_alu instid0(VALU_DEP_1) | instskip(NEXT) | instid1(VALU_DEP_4)
	v_add_co_ci_u32_e64 v120, s2, s7, v110, s2
	v_mul_f64 v[81:82], v[75:76], v[123:124]
	s_delay_alu instid0(VALU_DEP_1) | instskip(SKIP_3) | instid1(VALU_DEP_1)
	v_fma_f64 v[107:108], -v[73:74], v[81:82], v[75:76]
	global_load_b128 v[73:76], v[119:120], off
	v_div_fmas_f64 v[81:82], v[107:108], v[123:124], v[81:82]
	s_and_not1_b32 vcc_lo, exec_lo, s27
	v_div_fixup_f64 v[81:82], v[81:82], v[111:112], 1.0
	v_mul_f64 v[111:112], v[105:106], -2.0
	v_mul_f64 v[105:106], v[105:106], 0
	s_delay_alu instid0(VALU_DEP_2) | instskip(NEXT) | instid1(VALU_DEP_2)
	v_fma_f64 v[111:112], v[117:118], 0, v[111:112]
	v_fma_f64 v[105:106], v[117:118], 2.0, v[105:106]
	v_fma_f64 v[117:118], -v[45:46], v[93:94], v[23:24]
	s_waitcnt vmcnt(0)
	v_fma_f64 v[107:108], v[95:96], v[5:6], v[75:76]
	v_fma_f64 v[109:110], v[93:94], v[5:6], v[73:74]
	s_delay_alu instid0(VALU_DEP_2) | instskip(NEXT) | instid1(VALU_DEP_2)
	v_fma_f64 v[107:108], v[93:94], v[7:8], v[107:108]
	v_fma_f64 v[109:110], -v[95:96], v[7:8], v[109:110]
	s_delay_alu instid0(VALU_DEP_2) | instskip(NEXT) | instid1(VALU_DEP_2)
	v_fma_f64 v[107:108], v[51:52], v[1:2], v[107:108]
	v_fma_f64 v[109:110], v[49:50], v[1:2], v[109:110]
	s_delay_alu instid0(VALU_DEP_2) | instskip(SKIP_1) | instid1(VALU_DEP_3)
	v_fma_f64 v[123:124], v[49:50], v[3:4], v[107:108]
	v_mul_f64 v[107:108], v[111:112], v[81:82]
	v_fma_f64 v[109:110], -v[51:52], v[3:4], v[109:110]
	v_mul_f64 v[81:82], v[105:106], v[81:82]
	v_fma_f64 v[111:112], -v[41:42], v[93:94], v[21:22]
	s_delay_alu instid0(VALU_DEP_4) | instskip(NEXT) | instid1(VALU_DEP_4)
	v_mul_f64 v[105:106], v[107:108], -v[123:124]
	v_mul_f64 v[21:22], v[107:108], v[109:110]
	s_delay_alu instid0(VALU_DEP_2)
	v_fma_f64 v[23:24], v[109:110], v[81:82], v[105:106]
	global_load_b128 v[105:108], v[121:122], off
	v_fma_f64 v[21:22], v[123:124], v[81:82], v[21:22]
	v_fma_f64 v[109:110], -v[47:48], v[93:94], v[19:20]
	v_fma_f64 v[81:82], -v[43:44], v[93:94], v[17:18]
	v_fma_f64 v[123:124], -v[37:38], v[93:94], v[13:14]
	v_add_f64 v[13:14], v[89:90], -v[43:44]
	v_add_f64 v[17:18], v[97:98], -v[69:70]
	v_add_f64 v[19:20], v[99:100], -v[71:72]
	v_fma_f64 v[99:100], -v[37:38], v[95:96], v[125:126]
	v_fma_f64 v[127:128], -v[93:94], v[23:24], v[5:6]
	;; [unrolled: 1-line block ×3, first 2 shown]
	v_add_f64 v[5:6], v[77:78], -v[41:42]
	v_add_f64 v[7:8], v[79:80], -v[45:46]
	v_fma_f64 v[77:78], v[45:46], v[95:96], v[111:112]
	v_fma_f64 v[91:92], -v[43:44], v[95:96], v[109:110]
	v_add_f64 v[73:74], v[73:74], -v[23:24]
	v_add_f64 v[75:76], v[75:76], -v[21:22]
	v_fma_f64 v[79:80], -v[41:42], v[95:96], v[117:118]
	v_fma_f64 v[89:90], v[47:48], v[95:96], v[81:82]
	v_fma_f64 v[97:98], v[39:40], v[95:96], v[123:124]
	global_store_b128 v[67:68], v[101:104], off
	global_store_b128 v[115:116], v[5:8], off
	global_store_b128 v[113:114], v[13:16], off
	global_store_b128 v[129:130], v[17:20], off
	global_store_b128 v[119:120], v[73:76], off
	global_store_b128 v[57:58], v[93:96], off
	global_store_b128 v[59:60], v[77:80], off
	global_store_b128 v[61:62], v[89:92], off
	global_store_b128 v[65:66], v[97:100], off
	v_fma_f64 v[109:110], v[95:96], v[21:22], v[127:128]
	v_fma_f64 v[111:112], -v[93:94], v[21:22], v[131:132]
	s_waitcnt vmcnt(0)
	v_fma_f64 v[105:106], -v[69:70], v[93:94], v[105:106]
	v_fma_f64 v[107:108], -v[71:72], v[93:94], v[107:108]
	s_delay_alu instid0(VALU_DEP_2) | instskip(NEXT) | instid1(VALU_DEP_2)
	v_fma_f64 v[105:106], v[71:72], v[95:96], v[105:106]
	v_fma_f64 v[107:108], -v[69:70], v[95:96], v[107:108]
	global_store_b128 v[121:122], v[105:108], off
	global_store_b128 v[63:64], v[109:112], off
	s_cbranch_vccnz .LBB10_3
; %bb.18:                               ;   in Loop: Header=BB10_4 Depth=1
	v_fma_f64 v[5:6], -v[41:42], v[49:50], v[33:34]
	v_fma_f64 v[7:8], -v[45:46], v[49:50], v[35:36]
	;; [unrolled: 1-line block ×10, first 2 shown]
	v_ashrrev_i32_e32 v56, 31, v55
	v_ashrrev_i32_e32 v54, 31, v53
	v_fma_f64 v[1:2], v[45:46], v[51:52], v[5:6]
	v_fma_f64 v[3:4], -v[41:42], v[51:52], v[7:8]
	v_fma_f64 v[5:6], v[47:48], v[51:52], v[13:14]
	v_fma_f64 v[7:8], -v[43:44], v[51:52], v[15:16]
	;; [unrolled: 2-line block ×5, first 2 shown]
	v_lshlrev_b64 v[21:22], 4, v[55:56]
	v_lshlrev_b64 v[23:24], 4, v[53:54]
	s_delay_alu instid0(VALU_DEP_2) | instskip(NEXT) | instid1(VALU_DEP_3)
	v_add_co_u32 v25, vcc_lo, s20, v21
	v_add_co_ci_u32_e32 v26, vcc_lo, s21, v22, vcc_lo
	v_add_co_u32 v27, vcc_lo, s22, v21
	v_add_co_ci_u32_e32 v28, vcc_lo, s23, v22, vcc_lo
	;; [unrolled: 2-line block ×6, first 2 shown]
	global_store_b128 v[25:26], v[49:52], off
	global_store_b128 v[27:28], v[1:4], off
	;; [unrolled: 1-line block ×6, first 2 shown]
	s_branch .LBB10_3
.LBB10_19:
	s_cmp_lt_i32 s8, 1
	s_cbranch_scc1 .LBB10_32
; %bb.20:
	s_waitcnt vmcnt(0)
	v_mad_u64_u32 v[1:2], null, s9, s11, v[0:1]
	s_load_b64 s[0:1], s[0:1], 0x38
	s_add_i32 s2, s8, 3
	s_delay_alu instid0(VALU_DEP_1) | instid1(SALU_CYCLE_1)
	v_mad_u64_u32 v[2:3], null, s10, s2, v[0:1]
	s_add_i32 s2, s8, 2
	s_delay_alu instid0(SALU_CYCLE_1) | instskip(SKIP_1) | instid1(SALU_CYCLE_1)
	v_mad_u64_u32 v[3:4], null, s10, s2, v[0:1]
	s_add_i32 s2, s8, 1
	v_mad_u64_u32 v[4:5], null, s10, s2, v[0:1]
	v_mad_u64_u32 v[5:6], null, s10, s8, v[0:1]
	;; [unrolled: 1-line block ×3, first 2 shown]
	s_mov_b32 s2, s8
	s_branch .LBB10_22
.LBB10_21:                              ;   in Loop: Header=BB10_22 Depth=1
	v_lshlrev_b64 v[23:24], 4, v[7:8]
	v_subrev_nc_u32_e32 v1, s9, v1
	v_subrev_nc_u32_e32 v2, s10, v2
	;; [unrolled: 1-line block ×5, first 2 shown]
	s_waitcnt lgkmcnt(0)
	v_add_co_u32 v7, vcc_lo, s16, v23
	v_add_co_ci_u32_e32 v8, vcc_lo, s17, v24, vcc_lo
	v_add_co_u32 v13, vcc_lo, s6, v13
	v_add_co_ci_u32_e32 v14, vcc_lo, s7, v14, vcc_lo
	global_load_b128 v[15:18], v[7:8], off
	v_subrev_nc_u32_e32 v6, s10, v6
	s_add_i32 s2, s2, -1
	global_load_b128 v[19:22], v[13:14], off
	s_cmp_gt_i32 s2, 0
	s_waitcnt vmcnt(1)
	v_mul_f64 v[7:8], v[17:18], v[17:18]
	s_waitcnt vmcnt(0)
	v_add_f64 v[11:12], v[21:22], -v[11:12]
	v_add_f64 v[9:10], v[19:20], -v[9:10]
	s_delay_alu instid0(VALU_DEP_3) | instskip(NEXT) | instid1(VALU_DEP_3)
	v_fma_f64 v[7:8], v[15:16], v[15:16], v[7:8]
	v_mul_f64 v[19:20], v[11:12], v[17:18]
	s_delay_alu instid0(VALU_DEP_3) | instskip(NEXT) | instid1(VALU_DEP_3)
	v_mul_f64 v[17:18], v[17:18], -v[9:10]
	v_div_scale_f64 v[13:14], null, v[7:8], v[7:8], 1.0
	v_div_scale_f64 v[29:30], vcc_lo, 1.0, v[7:8], 1.0
	s_delay_alu instid0(VALU_DEP_4) | instskip(NEXT) | instid1(VALU_DEP_4)
	v_fma_f64 v[9:10], v[9:10], v[15:16], v[19:20]
	v_fma_f64 v[11:12], v[11:12], v[15:16], v[17:18]
	s_delay_alu instid0(VALU_DEP_4) | instskip(SKIP_2) | instid1(VALU_DEP_1)
	v_rcp_f64_e32 v[25:26], v[13:14]
	s_waitcnt_depctr 0xfff
	v_fma_f64 v[27:28], -v[13:14], v[25:26], 1.0
	v_fma_f64 v[25:26], v[25:26], v[27:28], v[25:26]
	s_delay_alu instid0(VALU_DEP_1) | instskip(NEXT) | instid1(VALU_DEP_1)
	v_fma_f64 v[27:28], -v[13:14], v[25:26], 1.0
	v_fma_f64 v[25:26], v[25:26], v[27:28], v[25:26]
	s_delay_alu instid0(VALU_DEP_1) | instskip(NEXT) | instid1(VALU_DEP_1)
	v_mul_f64 v[27:28], v[29:30], v[25:26]
	v_fma_f64 v[13:14], -v[13:14], v[27:28], v[29:30]
	s_delay_alu instid0(VALU_DEP_1) | instskip(NEXT) | instid1(VALU_DEP_1)
	v_div_fmas_f64 v[13:14], v[13:14], v[25:26], v[27:28]
	v_div_fixup_f64 v[13:14], v[13:14], v[7:8], 1.0
	s_delay_alu instid0(VALU_DEP_1)
	v_mul_f64 v[7:8], v[9:10], v[13:14]
	v_mul_f64 v[9:10], v[11:12], v[13:14]
	v_add_co_u32 v11, vcc_lo, s0, v23
	v_add_co_ci_u32_e32 v12, vcc_lo, s1, v24, vcc_lo
	global_store_b128 v[11:12], v[7:10], off
	s_cbranch_scc0 .LBB10_32
.LBB10_22:                              ; =>This Inner Loop Header: Depth=1
	v_mov_b32_e32 v11, 0
	s_delay_alu instid0(VALU_DEP_2) | instskip(NEXT) | instid1(VALU_DEP_2)
	v_dual_mov_b32 v12, 0 :: v_dual_add_nc_u32 v7, s5, v6
	v_mov_b32_e32 v9, v11
	s_cmp_ge_i32 s2, s8
	s_delay_alu instid0(VALU_DEP_2) | instskip(NEXT) | instid1(VALU_DEP_3)
	v_ashrrev_i32_e32 v8, 31, v7
	v_mov_b32_e32 v10, v12
	s_cbranch_scc1 .LBB10_24
; %bb.23:                               ;   in Loop: Header=BB10_22 Depth=1
	v_add_nc_u32_e32 v9, s5, v5
	s_delay_alu instid0(VALU_DEP_3) | instskip(NEXT) | instid1(VALU_DEP_2)
	v_lshlrev_b64 v[11:12], 4, v[7:8]
	v_ashrrev_i32_e32 v10, 31, v9
	s_waitcnt lgkmcnt(0)
	s_delay_alu instid0(VALU_DEP_2) | instskip(NEXT) | instid1(VALU_DEP_3)
	v_add_co_u32 v11, vcc_lo, s18, v11
	v_add_co_ci_u32_e32 v12, vcc_lo, s19, v12, vcc_lo
	s_delay_alu instid0(VALU_DEP_3) | instskip(NEXT) | instid1(VALU_DEP_1)
	v_lshlrev_b64 v[9:10], 4, v[9:10]
	v_add_co_u32 v13, vcc_lo, s0, v9
	s_delay_alu instid0(VALU_DEP_2)
	v_add_co_ci_u32_e32 v14, vcc_lo, s1, v10, vcc_lo
	global_load_b128 v[9:12], v[11:12], off
	global_load_b128 v[13:16], v[13:14], off
	s_waitcnt vmcnt(0)
	v_mul_f64 v[17:18], v[15:16], -v[11:12]
	v_mul_f64 v[15:16], v[15:16], v[9:10]
	s_delay_alu instid0(VALU_DEP_2) | instskip(NEXT) | instid1(VALU_DEP_2)
	v_fma_f64 v[9:10], v[9:10], v[13:14], v[17:18]
	v_fma_f64 v[11:12], v[11:12], v[13:14], v[15:16]
	s_delay_alu instid0(VALU_DEP_2) | instskip(NEXT) | instid1(VALU_DEP_2)
	v_add_f64 v[9:10], v[9:10], 0
	v_add_f64 v[11:12], v[11:12], 0
.LBB10_24:                              ;   in Loop: Header=BB10_22 Depth=1
	s_add_i32 s3, s2, 1
	s_delay_alu instid0(SALU_CYCLE_1)
	s_cmp_ge_i32 s3, s8
	s_cbranch_scc1 .LBB10_26
; %bb.25:                               ;   in Loop: Header=BB10_22 Depth=1
	v_add_nc_u32_e32 v13, s5, v4
	v_lshlrev_b64 v[15:16], 4, v[7:8]
	s_delay_alu instid0(VALU_DEP_2) | instskip(SKIP_1) | instid1(VALU_DEP_2)
	v_ashrrev_i32_e32 v14, 31, v13
	s_waitcnt lgkmcnt(0)
	v_add_co_u32 v15, vcc_lo, s24, v15
	s_delay_alu instid0(VALU_DEP_3) | instskip(NEXT) | instid1(VALU_DEP_3)
	v_add_co_ci_u32_e32 v16, vcc_lo, s25, v16, vcc_lo
	v_lshlrev_b64 v[13:14], 4, v[13:14]
	s_delay_alu instid0(VALU_DEP_1) | instskip(NEXT) | instid1(VALU_DEP_2)
	v_add_co_u32 v17, vcc_lo, s0, v13
	v_add_co_ci_u32_e32 v18, vcc_lo, s1, v14, vcc_lo
	global_load_b128 v[13:16], v[15:16], off
	global_load_b128 v[17:20], v[17:18], off
	s_waitcnt vmcnt(0)
	v_mul_f64 v[21:22], v[19:20], -v[15:16]
	v_mul_f64 v[19:20], v[19:20], v[13:14]
	s_delay_alu instid0(VALU_DEP_2) | instskip(NEXT) | instid1(VALU_DEP_2)
	v_fma_f64 v[13:14], v[13:14], v[17:18], v[21:22]
	v_fma_f64 v[15:16], v[15:16], v[17:18], v[19:20]
	s_delay_alu instid0(VALU_DEP_2) | instskip(NEXT) | instid1(VALU_DEP_2)
	v_add_f64 v[9:10], v[9:10], v[13:14]
	v_add_f64 v[11:12], v[11:12], v[15:16]
.LBB10_26:                              ;   in Loop: Header=BB10_22 Depth=1
	v_add_nc_u32_e32 v13, s5, v1
	s_add_i32 s3, s2, 2
	s_delay_alu instid0(SALU_CYCLE_1) | instskip(NEXT) | instid1(VALU_DEP_1)
	s_cmp_lt_i32 s3, s8
	v_ashrrev_i32_e32 v14, 31, v13
	s_cbranch_scc1 .LBB10_31
; %bb.27:                               ;   in Loop: Header=BB10_22 Depth=1
	s_cbranch_execnz .LBB10_29
.LBB10_28:                              ;   in Loop: Header=BB10_22 Depth=1
	v_add_nc_u32_e32 v15, s5, v3
	s_delay_alu instid0(VALU_DEP_2) | instskip(NEXT) | instid1(VALU_DEP_2)
	v_lshlrev_b64 v[17:18], 4, v[13:14]
	v_ashrrev_i32_e32 v16, 31, v15
	s_waitcnt lgkmcnt(0)
	s_delay_alu instid0(VALU_DEP_2) | instskip(NEXT) | instid1(VALU_DEP_3)
	v_add_co_u32 v17, vcc_lo, s12, v17
	v_add_co_ci_u32_e32 v18, vcc_lo, s13, v18, vcc_lo
	s_delay_alu instid0(VALU_DEP_3) | instskip(NEXT) | instid1(VALU_DEP_1)
	v_lshlrev_b64 v[15:16], 4, v[15:16]
	v_add_co_u32 v19, vcc_lo, s0, v15
	s_delay_alu instid0(VALU_DEP_2)
	v_add_co_ci_u32_e32 v20, vcc_lo, s1, v16, vcc_lo
	global_load_b128 v[15:18], v[17:18], off
	global_load_b128 v[19:22], v[19:20], off
	s_waitcnt vmcnt(0)
	v_mul_f64 v[23:24], v[21:22], -v[17:18]
	v_mul_f64 v[21:22], v[21:22], v[15:16]
	s_delay_alu instid0(VALU_DEP_2) | instskip(NEXT) | instid1(VALU_DEP_2)
	v_fma_f64 v[15:16], v[15:16], v[19:20], v[23:24]
	v_fma_f64 v[17:18], v[17:18], v[19:20], v[21:22]
	s_delay_alu instid0(VALU_DEP_2) | instskip(NEXT) | instid1(VALU_DEP_2)
	v_add_f64 v[9:10], v[9:10], v[15:16]
	v_add_f64 v[11:12], v[11:12], v[17:18]
.LBB10_29:                              ;   in Loop: Header=BB10_22 Depth=1
	s_delay_alu instid0(VALU_DEP_1) | instskip(SKIP_1) | instid1(SALU_CYCLE_1)
	v_lshlrev_b64 v[13:14], 4, v[13:14]
	s_add_i32 s3, s2, 3
	s_cmp_ge_i32 s3, s8
	s_cbranch_scc1 .LBB10_21
; %bb.30:                               ;   in Loop: Header=BB10_22 Depth=1
	v_add_nc_u32_e32 v15, s5, v2
	s_waitcnt lgkmcnt(0)
	v_add_co_u32 v17, vcc_lo, s14, v13
	v_add_co_ci_u32_e32 v18, vcc_lo, s15, v14, vcc_lo
	s_delay_alu instid0(VALU_DEP_3) | instskip(NEXT) | instid1(VALU_DEP_1)
	v_ashrrev_i32_e32 v16, 31, v15
	v_lshlrev_b64 v[15:16], 4, v[15:16]
	s_delay_alu instid0(VALU_DEP_1) | instskip(NEXT) | instid1(VALU_DEP_2)
	v_add_co_u32 v19, vcc_lo, s0, v15
	v_add_co_ci_u32_e32 v20, vcc_lo, s1, v16, vcc_lo
	global_load_b128 v[15:18], v[17:18], off
	global_load_b128 v[19:22], v[19:20], off
	s_waitcnt vmcnt(0)
	v_mul_f64 v[23:24], v[21:22], -v[17:18]
	v_mul_f64 v[21:22], v[21:22], v[15:16]
	s_delay_alu instid0(VALU_DEP_2) | instskip(NEXT) | instid1(VALU_DEP_2)
	v_fma_f64 v[15:16], v[15:16], v[19:20], v[23:24]
	v_fma_f64 v[17:18], v[17:18], v[19:20], v[21:22]
	s_delay_alu instid0(VALU_DEP_2) | instskip(NEXT) | instid1(VALU_DEP_2)
	v_add_f64 v[9:10], v[9:10], v[15:16]
	v_add_f64 v[11:12], v[11:12], v[17:18]
	s_branch .LBB10_21
.LBB10_31:                              ;   in Loop: Header=BB10_22 Depth=1
	s_branch .LBB10_28
.LBB10_32:
	s_nop 0
	s_sendmsg sendmsg(MSG_DEALLOC_VGPRS)
	s_endpgm
	.section	.rodata,"a",@progbits
	.p2align	6, 0x0
	.amdhsa_kernel _ZN9rocsparseL44gpsv_interleaved_batch_householder_qr_kernelILj256E21rocsparse_complex_numIdEEEviiiPT0_S4_S4_S4_S4_S4_S4_S4_S4_
		.amdhsa_group_segment_fixed_size 0
		.amdhsa_private_segment_fixed_size 0
		.amdhsa_kernarg_size 344
		.amdhsa_user_sgpr_count 15
		.amdhsa_user_sgpr_dispatch_ptr 0
		.amdhsa_user_sgpr_queue_ptr 0
		.amdhsa_user_sgpr_kernarg_segment_ptr 1
		.amdhsa_user_sgpr_dispatch_id 0
		.amdhsa_user_sgpr_private_segment_size 0
		.amdhsa_wavefront_size32 1
		.amdhsa_uses_dynamic_stack 0
		.amdhsa_enable_private_segment 0
		.amdhsa_system_sgpr_workgroup_id_x 1
		.amdhsa_system_sgpr_workgroup_id_y 0
		.amdhsa_system_sgpr_workgroup_id_z 0
		.amdhsa_system_sgpr_workgroup_info 0
		.amdhsa_system_vgpr_workitem_id 0
		.amdhsa_next_free_vgpr 133
		.amdhsa_next_free_sgpr 29
		.amdhsa_reserve_vcc 1
		.amdhsa_float_round_mode_32 0
		.amdhsa_float_round_mode_16_64 0
		.amdhsa_float_denorm_mode_32 3
		.amdhsa_float_denorm_mode_16_64 3
		.amdhsa_dx10_clamp 1
		.amdhsa_ieee_mode 1
		.amdhsa_fp16_overflow 0
		.amdhsa_workgroup_processor_mode 1
		.amdhsa_memory_ordered 1
		.amdhsa_forward_progress 0
		.amdhsa_shared_vgpr_count 0
		.amdhsa_exception_fp_ieee_invalid_op 0
		.amdhsa_exception_fp_denorm_src 0
		.amdhsa_exception_fp_ieee_div_zero 0
		.amdhsa_exception_fp_ieee_overflow 0
		.amdhsa_exception_fp_ieee_underflow 0
		.amdhsa_exception_fp_ieee_inexact 0
		.amdhsa_exception_int_div_zero 0
	.end_amdhsa_kernel
	.section	.text._ZN9rocsparseL44gpsv_interleaved_batch_householder_qr_kernelILj256E21rocsparse_complex_numIdEEEviiiPT0_S4_S4_S4_S4_S4_S4_S4_S4_,"axG",@progbits,_ZN9rocsparseL44gpsv_interleaved_batch_householder_qr_kernelILj256E21rocsparse_complex_numIdEEEviiiPT0_S4_S4_S4_S4_S4_S4_S4_S4_,comdat
.Lfunc_end10:
	.size	_ZN9rocsparseL44gpsv_interleaved_batch_householder_qr_kernelILj256E21rocsparse_complex_numIdEEEviiiPT0_S4_S4_S4_S4_S4_S4_S4_S4_, .Lfunc_end10-_ZN9rocsparseL44gpsv_interleaved_batch_householder_qr_kernelILj256E21rocsparse_complex_numIdEEEviiiPT0_S4_S4_S4_S4_S4_S4_S4_S4_
                                        ; -- End function
	.section	.AMDGPU.csdata,"",@progbits
; Kernel info:
; codeLenInByte = 5272
; NumSgprs: 31
; NumVgprs: 133
; ScratchSize: 0
; MemoryBound: 1
; FloatMode: 240
; IeeeMode: 1
; LDSByteSize: 0 bytes/workgroup (compile time only)
; SGPRBlocks: 3
; VGPRBlocks: 16
; NumSGPRsForWavesPerEU: 31
; NumVGPRsForWavesPerEU: 133
; Occupancy: 10
; WaveLimiterHint : 0
; COMPUTE_PGM_RSRC2:SCRATCH_EN: 0
; COMPUTE_PGM_RSRC2:USER_SGPR: 15
; COMPUTE_PGM_RSRC2:TRAP_HANDLER: 0
; COMPUTE_PGM_RSRC2:TGID_X_EN: 1
; COMPUTE_PGM_RSRC2:TGID_Y_EN: 0
; COMPUTE_PGM_RSRC2:TGID_Z_EN: 0
; COMPUTE_PGM_RSRC2:TIDIG_COMP_CNT: 0
	.section	.text._ZN9rocsparseL39gpsv_interleaved_batch_givens_qr_kernelILj128E21rocsparse_complex_numIdEEEviiiPT0_S4_S4_S4_S4_S4_S4_S4_,"axG",@progbits,_ZN9rocsparseL39gpsv_interleaved_batch_givens_qr_kernelILj128E21rocsparse_complex_numIdEEEviiiPT0_S4_S4_S4_S4_S4_S4_S4_,comdat
	.globl	_ZN9rocsparseL39gpsv_interleaved_batch_givens_qr_kernelILj128E21rocsparse_complex_numIdEEEviiiPT0_S4_S4_S4_S4_S4_S4_S4_ ; -- Begin function _ZN9rocsparseL39gpsv_interleaved_batch_givens_qr_kernelILj128E21rocsparse_complex_numIdEEEviiiPT0_S4_S4_S4_S4_S4_S4_S4_
	.p2align	8
	.type	_ZN9rocsparseL39gpsv_interleaved_batch_givens_qr_kernelILj128E21rocsparse_complex_numIdEEEviiiPT0_S4_S4_S4_S4_S4_S4_S4_,@function
_ZN9rocsparseL39gpsv_interleaved_batch_givens_qr_kernelILj128E21rocsparse_complex_numIdEEEviiiPT0_S4_S4_S4_S4_S4_S4_S4_: ; @_ZN9rocsparseL39gpsv_interleaved_batch_givens_qr_kernelILj128E21rocsparse_complex_numIdEEEviiiPT0_S4_S4_S4_S4_S4_S4_S4_
; %bb.0:
	s_load_b128 s[16:19], s[0:1], 0x0
	s_waitcnt lgkmcnt(0)
	s_lshl_b32 s19, s15, 7
	s_mov_b32 s2, exec_lo
	v_or_b32_e32 v41, s19, v0
	s_delay_alu instid0(VALU_DEP_1)
	v_cmpx_gt_i32_e64 s17, v41
	s_cbranch_execz .LBB11_25
; %bb.1:
	s_clause 0x2
	s_load_b64 s[2:3], s[0:1], 0x48
	s_load_b128 s[12:15], s[0:1], 0x38
	s_load_b256 s[4:11], s[0:1], 0x18
	s_add_i32 s20, s16, -2
	s_cmp_lt_i32 s16, 3
	s_cbranch_scc1 .LBB11_16
; %bb.2:
	s_load_b64 s[0:1], s[0:1], 0x10
	v_mov_b32_e32 v57, v41
	v_mov_b32_e32 v53, v41
	s_lshl_b32 s21, s18, 1
	s_mov_b32 s22, s20
	s_branch .LBB11_4
.LBB11_3:                               ;   in Loop: Header=BB11_4 Depth=1
	s_or_b32 exec_lo, exec_lo, s23
	s_delay_alu instid0(VALU_DEP_1) | instskip(SKIP_2) | instid1(SALU_CYCLE_1)
	v_cmp_gt_f64_e32 vcc_lo, 0x10000000, v[51:52]
	v_mul_f64 v[77:78], 0x80000000, v[21:22]
	s_add_i32 s22, s22, -1
	s_cmp_eq_u32 s22, 0
	v_cndmask_b32_e64 v40, 0, 1, vcc_lo
	s_delay_alu instid0(VALU_DEP_1) | instskip(NEXT) | instid1(VALU_DEP_1)
	v_lshlrev_b32_e32 v40, 8, v40
	v_ldexp_f64 v[51:52], v[51:52], v40
	v_cndmask_b32_e64 v40, 0, 0xffffff80, vcc_lo
	s_delay_alu instid0(VALU_DEP_2) | instskip(SKIP_4) | instid1(VALU_DEP_1)
	v_rsq_f64_e32 v[55:56], v[51:52]
	v_cmp_class_f64_e64 vcc_lo, v[51:52], 0x260
	s_waitcnt_depctr 0xfff
	v_mul_f64 v[59:60], v[51:52], v[55:56]
	v_mul_f64 v[55:56], v[55:56], 0.5
	v_fma_f64 v[61:62], -v[55:56], v[59:60], 0.5
	s_delay_alu instid0(VALU_DEP_1) | instskip(SKIP_1) | instid1(VALU_DEP_2)
	v_fma_f64 v[59:60], v[59:60], v[61:62], v[59:60]
	v_fma_f64 v[55:56], v[55:56], v[61:62], v[55:56]
	v_fma_f64 v[61:62], -v[59:60], v[59:60], v[51:52]
	s_delay_alu instid0(VALU_DEP_1) | instskip(NEXT) | instid1(VALU_DEP_1)
	v_fma_f64 v[59:60], v[61:62], v[55:56], v[59:60]
	v_fma_f64 v[61:62], -v[59:60], v[59:60], v[51:52]
	s_delay_alu instid0(VALU_DEP_1) | instskip(NEXT) | instid1(VALU_DEP_1)
	v_fma_f64 v[55:56], v[61:62], v[55:56], v[59:60]
	v_ldexp_f64 v[55:56], v[55:56], v40
	s_delay_alu instid0(VALU_DEP_1) | instskip(NEXT) | instid1(VALU_DEP_1)
	v_dual_cndmask_b32 v51, v55, v51 :: v_dual_cndmask_b32 v52, v56, v52
	v_fma_f64 v[55:56], v[51:52], v[51:52], 0
	s_delay_alu instid0(VALU_DEP_1) | instskip(SKIP_1) | instid1(VALU_DEP_2)
	v_div_scale_f64 v[59:60], null, v[55:56], v[55:56], 1.0
	v_div_scale_f64 v[73:74], vcc_lo, 1.0, v[55:56], 1.0
	v_rcp_f64_e32 v[61:62], v[59:60]
	s_waitcnt_depctr 0xfff
	v_fma_f64 v[71:72], -v[59:60], v[61:62], 1.0
	s_delay_alu instid0(VALU_DEP_1) | instskip(NEXT) | instid1(VALU_DEP_1)
	v_fma_f64 v[61:62], v[61:62], v[71:72], v[61:62]
	v_fma_f64 v[71:72], -v[59:60], v[61:62], 1.0
	s_delay_alu instid0(VALU_DEP_1) | instskip(NEXT) | instid1(VALU_DEP_1)
	v_fma_f64 v[71:72], v[61:62], v[71:72], v[61:62]
	v_mul_f64 v[75:76], v[73:74], v[71:72]
	s_delay_alu instid0(VALU_DEP_1)
	v_fma_f64 v[73:74], -v[59:60], v[75:76], v[73:74]
	global_load_b128 v[59:62], v[49:50], off
	v_div_fmas_f64 v[71:72], v[73:74], v[71:72], v[75:76]
	v_mul_f64 v[73:74], 0x80000000, v[23:24]
	v_fma_f64 v[75:76], -v[23:24], v[51:52], v[77:78]
	v_mul_f64 v[77:78], 0x80000000, v[35:36]
	s_delay_alu instid0(VALU_DEP_4) | instskip(SKIP_2) | instid1(VALU_DEP_3)
	v_div_fixup_f64 v[55:56], v[71:72], v[55:56], 1.0
	v_mul_f64 v[71:72], 0x80000000, v[33:34]
	v_fma_f64 v[73:74], v[21:22], v[51:52], v[73:74]
	v_mul_f64 v[81:82], v[75:76], v[55:56]
	s_delay_alu instid0(VALU_DEP_3) | instskip(SKIP_1) | instid1(VALU_DEP_4)
	v_fma_f64 v[71:72], -v[35:36], v[51:52], v[71:72]
	v_fma_f64 v[51:52], v[33:34], v[51:52], v[77:78]
	v_mul_f64 v[75:76], v[73:74], v[55:56]
	s_delay_alu instid0(VALU_DEP_4)
	v_mul_f64 v[73:74], v[81:82], -v[23:24]
	v_mul_f64 v[77:78], v[21:22], v[81:82]
	v_mul_f64 v[79:80], v[71:72], v[55:56]
	;; [unrolled: 1-line block ×3, first 2 shown]
	v_mul_f64 v[91:92], v[81:82], -v[7:8]
	v_mul_f64 v[93:94], v[5:6], v[81:82]
	v_fma_f64 v[21:22], v[21:22], v[75:76], v[73:74]
	v_fma_f64 v[23:24], v[23:24], v[75:76], v[77:78]
	v_mul_f64 v[55:56], v[11:12], v[79:80]
	v_mul_f64 v[71:72], v[9:10], -v[79:80]
	v_mul_f64 v[73:74], v[81:82], -v[11:12]
	v_mul_f64 v[77:78], v[9:10], v[81:82]
	v_mul_f64 v[87:88], v[7:8], v[79:80]
	v_mul_f64 v[89:90], v[5:6], -v[79:80]
	v_fma_f64 v[83:84], v[33:34], v[51:52], v[21:22]
	v_fma_f64 v[85:86], v[35:36], v[51:52], v[23:24]
	;; [unrolled: 1-line block ×6, first 2 shown]
	v_mul_f64 v[55:56], v[31:32], v[79:80]
	v_mul_f64 v[77:78], v[29:30], -v[79:80]
	v_fma_f64 v[71:72], -v[35:36], v[79:80], v[83:84]
	v_fma_f64 v[73:74], v[33:34], v[79:80], v[85:86]
	v_mul_f64 v[33:34], v[81:82], -v[31:32]
	v_mul_f64 v[35:36], v[29:30], v[81:82]
	v_mul_f64 v[83:84], v[19:20], v[79:80]
	v_fma_f64 v[85:86], v[5:6], v[51:52], v[87:88]
	v_fma_f64 v[5:6], v[5:6], v[75:76], v[91:92]
	v_mul_f64 v[91:92], v[81:82], -v[19:20]
	v_fma_f64 v[87:88], v[7:8], v[51:52], v[89:90]
	v_mul_f64 v[89:90], v[17:18], -v[79:80]
	v_fma_f64 v[55:56], v[29:30], v[51:52], v[55:56]
	v_fma_f64 v[77:78], v[31:32], v[51:52], v[77:78]
	;; [unrolled: 1-line block ×3, first 2 shown]
	v_add_co_u32 v93, vcc_lo, s2, v57
	v_add_co_ci_u32_e32 v94, vcc_lo, s3, v58, vcc_lo
	v_fma_f64 v[29:30], v[29:30], v[75:76], v[33:34]
	v_fma_f64 v[31:32], v[31:32], v[75:76], v[35:36]
	v_mul_f64 v[33:34], v[17:18], v[81:82]
	v_fma_f64 v[83:84], v[17:18], v[51:52], v[83:84]
	s_waitcnt vmcnt(2)
	v_fma_f64 v[57:58], v[25:26], v[51:52], v[5:6]
	v_fma_f64 v[17:18], v[17:18], v[75:76], v[91:92]
	;; [unrolled: 1-line block ×3, first 2 shown]
	s_waitcnt vmcnt(0)
	v_mul_f64 v[35:36], v[81:82], -v[61:62]
	v_mul_f64 v[91:92], v[79:80], v[61:62]
	v_fma_f64 v[95:96], v[13:14], v[51:52], v[29:30]
	v_fma_f64 v[97:98], v[15:16], v[51:52], v[31:32]
	;; [unrolled: 1-line block ×3, first 2 shown]
	v_mul_f64 v[33:34], v[81:82], v[59:60]
	v_fma_f64 v[31:32], -v[13:14], v[75:76], v[55:56]
	v_fma_f64 v[99:100], v[1:2], v[51:52], v[17:18]
	v_fma_f64 v[17:18], -v[25:26], v[75:76], v[85:86]
	v_fma_f64 v[55:56], -v[1:2], v[75:76], v[83:84]
	v_fma_f64 v[35:36], v[59:60], v[75:76], v[35:36]
	v_fma_f64 v[91:92], v[59:60], v[51:52], v[91:92]
	v_mul_f64 v[59:60], v[59:60], -v[79:80]
	v_fma_f64 v[101:102], v[3:4], v[51:52], v[19:20]
	v_fma_f64 v[33:34], v[61:62], v[75:76], v[33:34]
	v_fma_f64 v[19:20], -v[27:28], v[75:76], v[87:88]
	v_fma_f64 v[31:32], v[15:16], -v[81:82], v[31:32]
	v_fma_f64 v[17:18], v[27:28], -v[81:82], v[17:18]
	v_fma_f64 v[59:60], v[61:62], v[51:52], v[59:60]
	v_fma_f64 v[61:62], v[27:28], v[51:52], v[7:8]
	global_load_b128 v[5:8], v[93:94], off
	v_fma_f64 v[27:28], -v[27:28], v[79:80], v[57:58]
	v_mov_b32_e32 v57, v42
	v_fma_f64 v[19:20], v[25:26], v[81:82], v[19:20]
	v_fma_f64 v[29:30], v[25:26], v[79:80], v[61:62]
	s_waitcnt vmcnt(0)
	v_fma_f64 v[35:36], v[5:6], v[51:52], v[35:36]
	v_fma_f64 v[51:52], v[7:8], v[51:52], v[33:34]
	v_fma_f64 v[33:34], -v[15:16], v[75:76], v[77:78]
	v_fma_f64 v[77:78], -v[3:4], v[75:76], v[89:90]
	;; [unrolled: 1-line block ×5, first 2 shown]
	v_fma_f64 v[60:61], v[13:14], v[79:80], v[97:98]
	v_fma_f64 v[75:76], -v[3:4], v[79:80], v[99:100]
	v_fma_f64 v[33:34], v[13:14], v[81:82], v[33:34]
	v_fma_f64 v[13:14], v[3:4], -v[81:82], v[55:56]
	v_fma_f64 v[15:16], v[1:2], v[81:82], v[77:78]
	v_fma_f64 v[77:78], v[1:2], v[79:80], v[101:102]
	v_fma_f64 v[1:2], -v[7:8], v[79:80], v[35:36]
	v_fma_f64 v[3:4], v[5:6], v[79:80], v[51:52]
	v_fma_f64 v[79:80], v[7:8], -v[81:82], v[83:84]
	v_fma_f64 v[81:82], v[5:6], v[81:82], v[85:86]
	v_add_co_u32 v5, vcc_lo, s14, v53
	v_add_co_ci_u32_e32 v6, vcc_lo, s15, v54, vcc_lo
	v_mov_b32_e32 v53, v39
	global_store_b128 v[5:6], v[9:12], off
	s_clause 0x1
	global_store_b128 v[37:38], v[71:74], off
	global_store_b128 v[43:44], v[17:20], off
	s_clause 0x1
	global_store_b128 v[65:66], v[27:30], off
	;; [unrolled: 3-line block ×5, first 2 shown]
	global_store_b128 v[49:50], v[79:82], off
	s_cbranch_scc1 .LBB11_16
.LBB11_4:                               ; =>This Inner Loop Header: Depth=1
	v_add_nc_u32_e32 v1, s21, v57
	v_add_nc_u32_e32 v42, s18, v57
	s_mov_b32 s23, exec_lo
	s_delay_alu instid0(VALU_DEP_2) | instskip(NEXT) | instid1(VALU_DEP_2)
	v_ashrrev_i32_e32 v2, 31, v1
	v_ashrrev_i32_e32 v43, 31, v42
	s_delay_alu instid0(VALU_DEP_2) | instskip(NEXT) | instid1(VALU_DEP_2)
	v_lshlrev_b64 v[23:24], 4, v[1:2]
	v_lshlrev_b64 v[21:22], 4, v[42:43]
	s_waitcnt lgkmcnt(0)
	s_delay_alu instid0(VALU_DEP_2) | instskip(NEXT) | instid1(VALU_DEP_3)
	v_add_co_u32 v1, vcc_lo, s0, v23
	v_add_co_ci_u32_e32 v2, vcc_lo, s1, v24, vcc_lo
	s_delay_alu instid0(VALU_DEP_3) | instskip(NEXT) | instid1(VALU_DEP_4)
	v_add_co_u32 v51, vcc_lo, s4, v21
	v_add_co_ci_u32_e32 v52, vcc_lo, s5, v22, vcc_lo
	global_load_b128 v[5:8], v[1:2], off
	v_add_co_u32 v55, vcc_lo, s4, v23
	global_load_b128 v[37:40], v[51:52], off
	v_add_co_ci_u32_e32 v56, vcc_lo, s5, v24, vcc_lo
	v_add_co_u32 v43, vcc_lo, s6, v21
	v_add_co_ci_u32_e32 v44, vcc_lo, s7, v22, vcc_lo
	v_add_co_u32 v63, vcc_lo, s6, v23
	;; [unrolled: 2-line block ×6, first 2 shown]
	v_add_co_ci_u32_e32 v62, vcc_lo, s11, v24, vcc_lo
	global_load_b128 v[25:28], v[55:56], off
	s_clause 0x1
	global_load_b128 v[1:4], v[43:44], off
	global_load_b128 v[33:36], v[63:64], off
	s_clause 0x1
	global_load_b128 v[17:20], v[45:46], off
	;; [unrolled: 3-line block ×3, first 2 shown]
	global_load_b128 v[9:12], v[61:62], off
	s_waitcnt vmcnt(8)
	v_mul_f64 v[49:50], v[5:6], -v[7:8]
	v_mul_f64 v[65:66], v[7:8], v[7:8]
	s_delay_alu instid0(VALU_DEP_2) | instskip(NEXT) | instid1(VALU_DEP_2)
	v_fma_f64 v[49:50], v[7:8], v[5:6], v[49:50]
	v_fma_f64 v[65:66], v[5:6], v[5:6], v[65:66]
	s_waitcnt vmcnt(7)
	s_delay_alu instid0(VALU_DEP_2) | instskip(NEXT) | instid1(VALU_DEP_1)
	v_fma_f64 v[49:50], v[39:40], v[37:38], v[49:50]
	v_fma_f64 v[69:70], v[37:38], -v[39:40], v[49:50]
	s_delay_alu instid0(VALU_DEP_3) | instskip(NEXT) | instid1(VALU_DEP_2)
	v_fma_f64 v[49:50], v[37:38], v[37:38], v[65:66]
	v_cmp_gt_f64_e32 vcc_lo, 0, v[69:70]
	s_delay_alu instid0(VALU_DEP_2) | instskip(SKIP_1) | instid1(VALU_DEP_1)
	v_fma_f64 v[65:66], v[39:40], v[39:40], v[49:50]
	v_xor_b32_e32 v54, 0x80000000, v70
                                        ; implicit-def: $vgpr49_vgpr50
	v_dual_cndmask_b32 v68, v70, v54 :: v_dual_cndmask_b32 v67, v69, v69
	s_delay_alu instid0(VALU_DEP_1)
	v_cmpx_ngt_f64_e32 v[65:66], v[67:68]
	s_xor_b32 s23, exec_lo, s23
	s_cbranch_execz .LBB11_8
; %bb.5:                                ;   in Loop: Header=BB11_4 Depth=1
	v_mov_b32_e32 v49, 0
	v_mov_b32_e32 v50, 0
	s_mov_b32 s24, exec_lo
	v_cmpx_neq_f64_e32 0, v[69:70]
	s_cbranch_execz .LBB11_7
; %bb.6:                                ;   in Loop: Header=BB11_4 Depth=1
	v_div_scale_f64 v[49:50], null, v[67:68], v[67:68], v[65:66]
	v_div_scale_f64 v[73:74], vcc_lo, v[65:66], v[67:68], v[65:66]
	s_delay_alu instid0(VALU_DEP_2) | instskip(SKIP_2) | instid1(VALU_DEP_1)
	v_rcp_f64_e32 v[69:70], v[49:50]
	s_waitcnt_depctr 0xfff
	v_fma_f64 v[71:72], -v[49:50], v[69:70], 1.0
	v_fma_f64 v[69:70], v[69:70], v[71:72], v[69:70]
	s_delay_alu instid0(VALU_DEP_1) | instskip(NEXT) | instid1(VALU_DEP_1)
	v_fma_f64 v[71:72], -v[49:50], v[69:70], 1.0
	v_fma_f64 v[69:70], v[69:70], v[71:72], v[69:70]
	s_delay_alu instid0(VALU_DEP_1) | instskip(NEXT) | instid1(VALU_DEP_1)
	v_mul_f64 v[71:72], v[73:74], v[69:70]
	v_fma_f64 v[49:50], -v[49:50], v[71:72], v[73:74]
	s_delay_alu instid0(VALU_DEP_1) | instskip(NEXT) | instid1(VALU_DEP_1)
	v_div_fmas_f64 v[49:50], v[49:50], v[69:70], v[71:72]
	v_div_fixup_f64 v[49:50], v[49:50], v[67:68], v[65:66]
	s_delay_alu instid0(VALU_DEP_1) | instskip(NEXT) | instid1(VALU_DEP_1)
	v_fma_f64 v[49:50], v[49:50], v[49:50], 1.0
	v_cmp_gt_f64_e32 vcc_lo, 0x10000000, v[49:50]
	v_cndmask_b32_e64 v54, 0, 1, vcc_lo
	s_delay_alu instid0(VALU_DEP_1) | instskip(NEXT) | instid1(VALU_DEP_1)
	v_lshlrev_b32_e32 v54, 8, v54
	v_ldexp_f64 v[49:50], v[49:50], v54
	v_cndmask_b32_e64 v54, 0, 0xffffff80, vcc_lo
	s_delay_alu instid0(VALU_DEP_2) | instskip(SKIP_4) | instid1(VALU_DEP_1)
	v_rsq_f64_e32 v[65:66], v[49:50]
	v_cmp_class_f64_e64 vcc_lo, v[49:50], 0x260
	s_waitcnt_depctr 0xfff
	v_mul_f64 v[69:70], v[49:50], v[65:66]
	v_mul_f64 v[65:66], v[65:66], 0.5
	v_fma_f64 v[71:72], -v[65:66], v[69:70], 0.5
	s_delay_alu instid0(VALU_DEP_1) | instskip(SKIP_1) | instid1(VALU_DEP_2)
	v_fma_f64 v[69:70], v[69:70], v[71:72], v[69:70]
	v_fma_f64 v[65:66], v[65:66], v[71:72], v[65:66]
	v_fma_f64 v[71:72], -v[69:70], v[69:70], v[49:50]
	s_delay_alu instid0(VALU_DEP_1) | instskip(NEXT) | instid1(VALU_DEP_1)
	v_fma_f64 v[69:70], v[71:72], v[65:66], v[69:70]
	v_fma_f64 v[71:72], -v[69:70], v[69:70], v[49:50]
	s_delay_alu instid0(VALU_DEP_1) | instskip(NEXT) | instid1(VALU_DEP_1)
	v_fma_f64 v[65:66], v[71:72], v[65:66], v[69:70]
	v_ldexp_f64 v[65:66], v[65:66], v54
	s_delay_alu instid0(VALU_DEP_1) | instskip(NEXT) | instid1(VALU_DEP_1)
	v_dual_cndmask_b32 v49, v65, v49 :: v_dual_cndmask_b32 v50, v66, v50
	v_mul_f64 v[49:50], v[67:68], v[49:50]
.LBB11_7:                               ;   in Loop: Header=BB11_4 Depth=1
	s_or_b32 exec_lo, exec_lo, s24
                                        ; implicit-def: $vgpr65_vgpr66
                                        ; implicit-def: $vgpr67_vgpr68
.LBB11_8:                               ;   in Loop: Header=BB11_4 Depth=1
	s_and_not1_saveexec_b32 s23, s23
	s_cbranch_execz .LBB11_10
; %bb.9:                                ;   in Loop: Header=BB11_4 Depth=1
	v_div_scale_f64 v[49:50], null, v[65:66], v[65:66], v[67:68]
	v_div_scale_f64 v[73:74], vcc_lo, v[67:68], v[65:66], v[67:68]
	s_delay_alu instid0(VALU_DEP_2) | instskip(SKIP_2) | instid1(VALU_DEP_1)
	v_rcp_f64_e32 v[69:70], v[49:50]
	s_waitcnt_depctr 0xfff
	v_fma_f64 v[71:72], -v[49:50], v[69:70], 1.0
	v_fma_f64 v[69:70], v[69:70], v[71:72], v[69:70]
	s_delay_alu instid0(VALU_DEP_1) | instskip(NEXT) | instid1(VALU_DEP_1)
	v_fma_f64 v[71:72], -v[49:50], v[69:70], 1.0
	v_fma_f64 v[69:70], v[69:70], v[71:72], v[69:70]
	s_delay_alu instid0(VALU_DEP_1) | instskip(NEXT) | instid1(VALU_DEP_1)
	v_mul_f64 v[71:72], v[73:74], v[69:70]
	v_fma_f64 v[49:50], -v[49:50], v[71:72], v[73:74]
	s_delay_alu instid0(VALU_DEP_1) | instskip(NEXT) | instid1(VALU_DEP_1)
	v_div_fmas_f64 v[49:50], v[49:50], v[69:70], v[71:72]
	v_div_fixup_f64 v[49:50], v[49:50], v[65:66], v[67:68]
	s_delay_alu instid0(VALU_DEP_1) | instskip(NEXT) | instid1(VALU_DEP_1)
	v_fma_f64 v[49:50], v[49:50], v[49:50], 1.0
	v_cmp_gt_f64_e32 vcc_lo, 0x10000000, v[49:50]
	v_cndmask_b32_e64 v54, 0, 1, vcc_lo
	s_delay_alu instid0(VALU_DEP_1) | instskip(NEXT) | instid1(VALU_DEP_1)
	v_lshlrev_b32_e32 v54, 8, v54
	v_ldexp_f64 v[49:50], v[49:50], v54
	v_cndmask_b32_e64 v54, 0, 0xffffff80, vcc_lo
	s_delay_alu instid0(VALU_DEP_2) | instskip(SKIP_4) | instid1(VALU_DEP_1)
	v_rsq_f64_e32 v[67:68], v[49:50]
	v_cmp_class_f64_e64 vcc_lo, v[49:50], 0x260
	s_waitcnt_depctr 0xfff
	v_mul_f64 v[69:70], v[49:50], v[67:68]
	v_mul_f64 v[67:68], v[67:68], 0.5
	v_fma_f64 v[71:72], -v[67:68], v[69:70], 0.5
	s_delay_alu instid0(VALU_DEP_1) | instskip(SKIP_1) | instid1(VALU_DEP_2)
	v_fma_f64 v[69:70], v[69:70], v[71:72], v[69:70]
	v_fma_f64 v[67:68], v[67:68], v[71:72], v[67:68]
	v_fma_f64 v[71:72], -v[69:70], v[69:70], v[49:50]
	s_delay_alu instid0(VALU_DEP_1) | instskip(NEXT) | instid1(VALU_DEP_1)
	v_fma_f64 v[69:70], v[71:72], v[67:68], v[69:70]
	v_fma_f64 v[71:72], -v[69:70], v[69:70], v[49:50]
	s_delay_alu instid0(VALU_DEP_1) | instskip(NEXT) | instid1(VALU_DEP_1)
	v_fma_f64 v[67:68], v[71:72], v[67:68], v[69:70]
	v_ldexp_f64 v[67:68], v[67:68], v54
	s_delay_alu instid0(VALU_DEP_1) | instskip(NEXT) | instid1(VALU_DEP_1)
	v_dual_cndmask_b32 v49, v67, v49 :: v_dual_cndmask_b32 v50, v68, v50
	v_mul_f64 v[49:50], v[65:66], v[49:50]
.LBB11_10:                              ;   in Loop: Header=BB11_4 Depth=1
	s_or_b32 exec_lo, exec_lo, s23
	s_delay_alu instid0(VALU_DEP_1) | instskip(SKIP_4) | instid1(VALU_DEP_1)
	v_cmp_gt_f64_e32 vcc_lo, 0x10000000, v[49:50]
	v_mul_f64 v[75:76], 0x80000000, v[39:40]
	v_mul_f64 v[77:78], 0x80000000, v[7:8]
	v_ashrrev_i32_e32 v58, 31, v57
	s_mov_b32 s23, exec_lo
	v_lshlrev_b64 v[57:58], 4, v[57:58]
	v_cndmask_b32_e64 v54, 0, 1, vcc_lo
	s_delay_alu instid0(VALU_DEP_1) | instskip(NEXT) | instid1(VALU_DEP_1)
	v_lshlrev_b32_e32 v54, 8, v54
	v_ldexp_f64 v[49:50], v[49:50], v54
	v_cndmask_b32_e64 v54, 0, 0xffffff80, vcc_lo
	s_delay_alu instid0(VALU_DEP_2) | instskip(SKIP_4) | instid1(VALU_DEP_1)
	v_rsq_f64_e32 v[65:66], v[49:50]
	v_cmp_class_f64_e64 vcc_lo, v[49:50], 0x260
	s_waitcnt_depctr 0xfff
	v_mul_f64 v[67:68], v[49:50], v[65:66]
	v_mul_f64 v[65:66], v[65:66], 0.5
	v_fma_f64 v[69:70], -v[65:66], v[67:68], 0.5
	s_delay_alu instid0(VALU_DEP_1) | instskip(SKIP_1) | instid1(VALU_DEP_2)
	v_fma_f64 v[67:68], v[67:68], v[69:70], v[67:68]
	v_fma_f64 v[65:66], v[65:66], v[69:70], v[65:66]
	v_fma_f64 v[69:70], -v[67:68], v[67:68], v[49:50]
	s_delay_alu instid0(VALU_DEP_1) | instskip(NEXT) | instid1(VALU_DEP_1)
	v_fma_f64 v[67:68], v[69:70], v[65:66], v[67:68]
	v_fma_f64 v[69:70], -v[67:68], v[67:68], v[49:50]
	s_delay_alu instid0(VALU_DEP_1) | instskip(NEXT) | instid1(VALU_DEP_1)
	v_fma_f64 v[65:66], v[69:70], v[65:66], v[67:68]
	v_ldexp_f64 v[65:66], v[65:66], v54
	v_ashrrev_i32_e32 v54, 31, v53
	s_delay_alu instid0(VALU_DEP_2) | instskip(NEXT) | instid1(VALU_DEP_1)
	v_dual_cndmask_b32 v49, v65, v49 :: v_dual_cndmask_b32 v50, v66, v50
	v_fma_f64 v[65:66], v[49:50], v[49:50], 0
	s_delay_alu instid0(VALU_DEP_1) | instskip(SKIP_1) | instid1(VALU_DEP_2)
	v_div_scale_f64 v[67:68], null, v[65:66], v[65:66], 1.0
	v_div_scale_f64 v[73:74], vcc_lo, 1.0, v[65:66], 1.0
	v_rcp_f64_e32 v[69:70], v[67:68]
	s_waitcnt_depctr 0xfff
	v_fma_f64 v[71:72], -v[67:68], v[69:70], 1.0
	s_delay_alu instid0(VALU_DEP_1) | instskip(NEXT) | instid1(VALU_DEP_1)
	v_fma_f64 v[69:70], v[69:70], v[71:72], v[69:70]
	v_fma_f64 v[71:72], -v[67:68], v[69:70], 1.0
	s_delay_alu instid0(VALU_DEP_1) | instskip(NEXT) | instid1(VALU_DEP_1)
	v_fma_f64 v[69:70], v[69:70], v[71:72], v[69:70]
	v_mul_f64 v[71:72], v[73:74], v[69:70]
	s_delay_alu instid0(VALU_DEP_1) | instskip(SKIP_1) | instid1(VALU_DEP_2)
	v_fma_f64 v[67:68], -v[67:68], v[71:72], v[73:74]
	v_mul_f64 v[73:74], 0x80000000, v[5:6]
	v_div_fmas_f64 v[67:68], v[67:68], v[69:70], v[71:72]
	v_mul_f64 v[69:70], 0x80000000, v[37:38]
	s_delay_alu instid0(VALU_DEP_3)
	v_fma_f64 v[73:74], -v[7:8], v[49:50], v[73:74]
	v_add_co_u32 v89, vcc_lo, s2, v23
	v_add_co_ci_u32_e32 v90, vcc_lo, s3, v24, vcc_lo
	v_fma_f64 v[23:24], v[37:38], v[49:50], v[75:76]
	v_div_fixup_f64 v[65:66], v[67:68], v[65:66], 1.0
	v_fma_f64 v[67:68], -v[39:40], v[49:50], v[69:70]
	global_load_b128 v[69:72], v[89:90], off
	v_fma_f64 v[49:50], v[5:6], v[49:50], v[77:78]
	v_mul_f64 v[87:88], v[73:74], v[65:66]
	v_mul_f64 v[85:86], v[67:68], v[65:66]
	;; [unrolled: 1-line block ×3, first 2 shown]
	s_delay_alu instid0(VALU_DEP_4) | instskip(SKIP_1) | instid1(VALU_DEP_4)
	v_mul_f64 v[93:94], v[49:50], v[65:66]
	s_waitcnt vmcnt(7)
	v_mul_f64 v[23:24], v[87:88], -v[27:28]
	v_mul_f64 v[49:50], v[25:26], v[87:88]
	s_waitcnt vmcnt(5)
	v_mul_f64 v[65:66], v[35:36], v[85:86]
	v_mul_f64 v[67:68], v[33:34], -v[85:86]
	v_mul_f64 v[73:74], v[87:88], -v[7:8]
	v_mul_f64 v[75:76], v[5:6], v[87:88]
	s_waitcnt vmcnt(1)
	v_mul_f64 v[77:78], v[87:88], -v[11:12]
	v_mul_f64 v[79:80], v[9:10], v[87:88]
	v_fma_f64 v[23:24], v[25:26], v[93:94], v[23:24]
	v_fma_f64 v[49:50], v[27:28], v[93:94], v[49:50]
	;; [unrolled: 1-line block ×6, first 2 shown]
	v_mul_f64 v[73:74], v[11:12], v[85:86]
	v_mul_f64 v[75:76], v[9:10], -v[85:86]
	v_fma_f64 v[23:24], v[1:2], v[91:92], v[23:24]
	v_fma_f64 v[81:82], v[3:4], v[91:92], v[49:50]
	v_fma_f64 v[65:66], -v[17:18], v[93:94], v[65:66]
	v_fma_f64 v[67:68], -v[19:20], v[93:94], v[67:68]
	v_fma_f64 v[83:84], v[37:38], v[91:92], v[5:6]
	v_fma_f64 v[95:96], v[39:40], v[91:92], v[7:8]
	v_add_co_u32 v49, vcc_lo, s2, v21
	v_add_co_ci_u32_e32 v50, vcc_lo, s3, v22, vcc_lo
	v_fma_f64 v[73:74], v[9:10], v[91:92], v[73:74]
	v_fma_f64 v[75:76], v[11:12], v[91:92], v[75:76]
	;; [unrolled: 1-line block ×4, first 2 shown]
	global_load_b128 v[77:80], v[49:50], off
	v_fma_f64 v[5:6], -v[3:4], v[85:86], v[23:24]
	v_fma_f64 v[7:8], v[1:2], v[85:86], v[81:82]
	v_fma_f64 v[65:66], v[19:20], -v[87:88], v[65:66]
	v_fma_f64 v[67:68], v[17:18], v[87:88], v[67:68]
	v_mul_f64 v[81:82], v[87:88], -v[35:36]
	v_fma_f64 v[21:22], -v[39:40], v[85:86], v[83:84]
	v_fma_f64 v[23:24], v[37:38], v[85:86], v[95:96]
	v_mul_f64 v[83:84], v[87:88], -v[31:32]
	v_mul_f64 v[95:96], v[29:30], v[87:88]
	v_mul_f64 v[39:40], v[33:34], v[87:88]
	v_add_co_u32 v37, vcc_lo, s6, v57
	v_add_co_ci_u32_e32 v38, vcc_lo, s7, v58, vcc_lo
	s_clause 0x1
	global_store_b128 v[43:44], v[5:8], off
	global_store_b128 v[63:64], v[65:68], off
	v_mul_f64 v[65:66], v[29:30], -v[85:86]
	v_mul_f64 v[63:64], v[31:32], v[85:86]
	v_fma_f64 v[67:68], v[33:34], v[93:94], v[81:82]
	v_fma_f64 v[81:82], v[29:30], v[93:94], v[83:84]
	v_fma_f64 v[83:84], v[31:32], v[93:94], v[95:96]
	v_fma_f64 v[39:40], v[35:36], v[93:94], v[39:40]
	global_load_b128 v[33:36], v[37:38], off
	v_fma_f64 v[31:32], v[31:32], v[91:92], v[65:66]
	v_mul_f64 v[65:66], v[25:26], -v[85:86]
	v_fma_f64 v[29:30], v[29:30], v[91:92], v[63:64]
	v_mul_f64 v[63:64], v[27:28], v[85:86]
	v_fma_f64 v[39:40], v[19:20], v[91:92], v[39:40]
	s_delay_alu instid0(VALU_DEP_4) | instskip(SKIP_1) | instid1(VALU_DEP_4)
	v_fma_f64 v[27:28], v[27:28], v[91:92], v[65:66]
	v_fma_f64 v[65:66], v[13:14], v[91:92], v[81:82]
	;; [unrolled: 1-line block ×5, first 2 shown]
	v_fma_f64 v[81:82], -v[13:14], v[93:94], v[29:30]
	v_fma_f64 v[83:84], -v[15:16], v[93:94], v[31:32]
	v_fma_f64 v[31:32], v[17:18], v[85:86], v[39:40]
	v_add_nc_u32_e32 v39, s17, v53
	v_lshlrev_b64 v[53:54], 4, v[53:54]
	s_delay_alu instid0(VALU_DEP_2)
	v_ashrrev_i32_e32 v40, 31, v39
	s_waitcnt vmcnt(2)
	v_mul_f64 v[99:100], v[87:88], -v[71:72]
	v_mul_f64 v[103:104], v[85:86], v[71:72]
	v_mul_f64 v[101:102], v[87:88], v[69:70]
	v_fma_f64 v[97:98], -v[3:4], v[93:94], v[27:28]
	v_fma_f64 v[17:18], -v[15:16], v[85:86], v[65:66]
	;; [unrolled: 1-line block ×4, first 2 shown]
	v_fma_f64 v[19:20], v[13:14], v[85:86], v[67:68]
	v_fma_f64 v[25:26], v[15:16], -v[87:88], v[81:82]
	v_fma_f64 v[27:28], v[13:14], v[87:88], v[83:84]
	v_mul_f64 v[13:14], v[69:70], -v[85:86]
	v_add_co_u32 v65, vcc_lo, s8, v57
	v_add_co_ci_u32_e32 v66, vcc_lo, s9, v58, vcc_lo
	v_fma_f64 v[83:84], v[1:2], v[87:88], v[97:98]
	v_lshlrev_b64 v[1:2], 4, v[39:40]
	v_fma_f64 v[81:82], v[3:4], -v[87:88], v[95:96]
	v_fma_f64 v[95:96], v[69:70], v[93:94], v[99:100]
	v_fma_f64 v[99:100], v[69:70], v[91:92], v[103:104]
	;; [unrolled: 1-line block ×3, first 2 shown]
	v_add_co_u32 v63, vcc_lo, s12, v1
	v_add_co_ci_u32_e32 v64, vcc_lo, s13, v2, vcc_lo
	v_add_co_u32 v67, vcc_lo, s12, v53
	v_add_co_ci_u32_e32 v68, vcc_lo, s13, v54, vcc_lo
	;; [unrolled: 2-line block ×3, first 2 shown]
	global_store_b128 v[63:64], v[9:12], off
	s_clause 0x1
	global_store_b128 v[45:46], v[29:32], off
	global_store_b128 v[59:60], v[25:28], off
	global_load_b128 v[1:4], v[67:68], off
	s_clause 0x1
	global_store_b128 v[47:48], v[17:20], off
	global_store_b128 v[61:62], v[73:76], off
	v_fma_f64 v[101:102], v[71:72], v[91:92], v[13:14]
	global_load_b128 v[25:28], v[65:66], off
	global_load_b128 v[13:16], v[69:70], off
	v_mul_f64 v[59:60], v[21:22], -v[23:24]
	s_delay_alu instid0(VALU_DEP_1) | instskip(SKIP_4) | instid1(VALU_DEP_3)
	v_fma_f64 v[59:60], v[23:24], v[21:22], v[59:60]
	s_waitcnt vmcnt(4)
	v_fma_f64 v[61:62], v[77:78], v[91:92], v[95:96]
	v_fma_f64 v[71:72], v[79:80], v[91:92], v[97:98]
	v_fma_f64 v[91:92], -v[79:80], v[93:94], v[101:102]
	v_fma_f64 v[73:74], -v[79:80], v[85:86], v[61:62]
	v_mul_f64 v[61:62], v[23:24], v[23:24]
	s_delay_alu instid0(VALU_DEP_4) | instskip(SKIP_3) | instid1(VALU_DEP_4)
	v_fma_f64 v[75:76], v[77:78], v[85:86], v[71:72]
	v_fma_f64 v[85:86], -v[77:78], v[93:94], v[99:100]
	s_waitcnt vmcnt(3)
	v_fma_f64 v[59:60], v[35:36], v[33:34], v[59:60]
	v_fma_f64 v[61:62], v[21:22], v[21:22], v[61:62]
	s_delay_alu instid0(VALU_DEP_3)
	v_fma_f64 v[85:86], v[79:80], -v[87:88], v[85:86]
	v_fma_f64 v[87:88], v[77:78], v[87:88], v[91:92]
	s_clause 0x1
	global_store_b128 v[51:52], v[21:24], off
	global_store_b128 v[55:56], v[81:84], off
	s_clause 0x1
	global_store_b128 v[49:50], v[73:76], off
	global_store_b128 v[89:90], v[85:88], off
	v_fma_f64 v[71:72], v[33:34], -v[35:36], v[59:60]
	v_fma_f64 v[59:60], v[33:34], v[33:34], v[61:62]
                                        ; implicit-def: $vgpr51_vgpr52
	s_delay_alu instid0(VALU_DEP_2) | instskip(NEXT) | instid1(VALU_DEP_2)
	v_cmp_gt_f64_e32 vcc_lo, 0, v[71:72]
	v_fma_f64 v[59:60], v[35:36], v[35:36], v[59:60]
	v_xor_b32_e32 v40, 0x80000000, v72
	s_delay_alu instid0(VALU_DEP_1) | instskip(NEXT) | instid1(VALU_DEP_1)
	v_dual_cndmask_b32 v62, v72, v40 :: v_dual_cndmask_b32 v61, v71, v71
	v_cmpx_ngt_f64_e32 v[59:60], v[61:62]
	s_xor_b32 s23, exec_lo, s23
	s_cbranch_execz .LBB11_14
; %bb.11:                               ;   in Loop: Header=BB11_4 Depth=1
	v_mov_b32_e32 v51, 0
	v_mov_b32_e32 v52, 0
	s_mov_b32 s24, exec_lo
	v_cmpx_neq_f64_e32 0, v[71:72]
	s_cbranch_execz .LBB11_13
; %bb.12:                               ;   in Loop: Header=BB11_4 Depth=1
	v_div_scale_f64 v[51:52], null, v[61:62], v[61:62], v[59:60]
	v_div_scale_f64 v[73:74], vcc_lo, v[59:60], v[61:62], v[59:60]
	s_delay_alu instid0(VALU_DEP_2) | instskip(SKIP_2) | instid1(VALU_DEP_1)
	v_rcp_f64_e32 v[55:56], v[51:52]
	s_waitcnt_depctr 0xfff
	v_fma_f64 v[71:72], -v[51:52], v[55:56], 1.0
	v_fma_f64 v[55:56], v[55:56], v[71:72], v[55:56]
	s_delay_alu instid0(VALU_DEP_1) | instskip(NEXT) | instid1(VALU_DEP_1)
	v_fma_f64 v[71:72], -v[51:52], v[55:56], 1.0
	v_fma_f64 v[55:56], v[55:56], v[71:72], v[55:56]
	s_delay_alu instid0(VALU_DEP_1) | instskip(NEXT) | instid1(VALU_DEP_1)
	v_mul_f64 v[71:72], v[73:74], v[55:56]
	v_fma_f64 v[51:52], -v[51:52], v[71:72], v[73:74]
	s_delay_alu instid0(VALU_DEP_1) | instskip(NEXT) | instid1(VALU_DEP_1)
	v_div_fmas_f64 v[51:52], v[51:52], v[55:56], v[71:72]
	v_div_fixup_f64 v[51:52], v[51:52], v[61:62], v[59:60]
	s_delay_alu instid0(VALU_DEP_1) | instskip(NEXT) | instid1(VALU_DEP_1)
	v_fma_f64 v[51:52], v[51:52], v[51:52], 1.0
	v_cmp_gt_f64_e32 vcc_lo, 0x10000000, v[51:52]
	v_cndmask_b32_e64 v40, 0, 1, vcc_lo
	s_delay_alu instid0(VALU_DEP_1) | instskip(NEXT) | instid1(VALU_DEP_1)
	v_lshlrev_b32_e32 v40, 8, v40
	v_ldexp_f64 v[51:52], v[51:52], v40
	v_cndmask_b32_e64 v40, 0, 0xffffff80, vcc_lo
	s_delay_alu instid0(VALU_DEP_2) | instskip(SKIP_4) | instid1(VALU_DEP_1)
	v_rsq_f64_e32 v[55:56], v[51:52]
	v_cmp_class_f64_e64 vcc_lo, v[51:52], 0x260
	s_waitcnt_depctr 0xfff
	v_mul_f64 v[59:60], v[51:52], v[55:56]
	v_mul_f64 v[55:56], v[55:56], 0.5
	v_fma_f64 v[71:72], -v[55:56], v[59:60], 0.5
	s_delay_alu instid0(VALU_DEP_1) | instskip(SKIP_1) | instid1(VALU_DEP_2)
	v_fma_f64 v[59:60], v[59:60], v[71:72], v[59:60]
	v_fma_f64 v[55:56], v[55:56], v[71:72], v[55:56]
	v_fma_f64 v[71:72], -v[59:60], v[59:60], v[51:52]
	s_delay_alu instid0(VALU_DEP_1) | instskip(NEXT) | instid1(VALU_DEP_1)
	v_fma_f64 v[59:60], v[71:72], v[55:56], v[59:60]
	v_fma_f64 v[71:72], -v[59:60], v[59:60], v[51:52]
	s_delay_alu instid0(VALU_DEP_1) | instskip(NEXT) | instid1(VALU_DEP_1)
	v_fma_f64 v[55:56], v[71:72], v[55:56], v[59:60]
	v_ldexp_f64 v[55:56], v[55:56], v40
	s_delay_alu instid0(VALU_DEP_1) | instskip(NEXT) | instid1(VALU_DEP_1)
	v_dual_cndmask_b32 v51, v55, v51 :: v_dual_cndmask_b32 v52, v56, v52
	v_mul_f64 v[51:52], v[61:62], v[51:52]
.LBB11_13:                              ;   in Loop: Header=BB11_4 Depth=1
	s_or_b32 exec_lo, exec_lo, s24
                                        ; implicit-def: $vgpr59_vgpr60
                                        ; implicit-def: $vgpr61_vgpr62
.LBB11_14:                              ;   in Loop: Header=BB11_4 Depth=1
	s_and_not1_saveexec_b32 s23, s23
	s_cbranch_execz .LBB11_3
; %bb.15:                               ;   in Loop: Header=BB11_4 Depth=1
	v_div_scale_f64 v[51:52], null, v[59:60], v[59:60], v[61:62]
	v_div_scale_f64 v[73:74], vcc_lo, v[61:62], v[59:60], v[61:62]
	s_delay_alu instid0(VALU_DEP_2) | instskip(SKIP_2) | instid1(VALU_DEP_1)
	v_rcp_f64_e32 v[55:56], v[51:52]
	s_waitcnt_depctr 0xfff
	v_fma_f64 v[71:72], -v[51:52], v[55:56], 1.0
	v_fma_f64 v[55:56], v[55:56], v[71:72], v[55:56]
	s_delay_alu instid0(VALU_DEP_1) | instskip(NEXT) | instid1(VALU_DEP_1)
	v_fma_f64 v[71:72], -v[51:52], v[55:56], 1.0
	v_fma_f64 v[55:56], v[55:56], v[71:72], v[55:56]
	s_delay_alu instid0(VALU_DEP_1) | instskip(NEXT) | instid1(VALU_DEP_1)
	v_mul_f64 v[71:72], v[73:74], v[55:56]
	v_fma_f64 v[51:52], -v[51:52], v[71:72], v[73:74]
	s_delay_alu instid0(VALU_DEP_1) | instskip(NEXT) | instid1(VALU_DEP_1)
	v_div_fmas_f64 v[51:52], v[51:52], v[55:56], v[71:72]
	v_div_fixup_f64 v[51:52], v[51:52], v[59:60], v[61:62]
	s_delay_alu instid0(VALU_DEP_1) | instskip(NEXT) | instid1(VALU_DEP_1)
	v_fma_f64 v[51:52], v[51:52], v[51:52], 1.0
	v_cmp_gt_f64_e32 vcc_lo, 0x10000000, v[51:52]
	v_cndmask_b32_e64 v40, 0, 1, vcc_lo
	s_delay_alu instid0(VALU_DEP_1) | instskip(NEXT) | instid1(VALU_DEP_1)
	v_lshlrev_b32_e32 v40, 8, v40
	v_ldexp_f64 v[51:52], v[51:52], v40
	v_cndmask_b32_e64 v40, 0, 0xffffff80, vcc_lo
	s_delay_alu instid0(VALU_DEP_2) | instskip(SKIP_4) | instid1(VALU_DEP_1)
	v_rsq_f64_e32 v[55:56], v[51:52]
	v_cmp_class_f64_e64 vcc_lo, v[51:52], 0x260
	s_waitcnt_depctr 0xfff
	v_mul_f64 v[61:62], v[51:52], v[55:56]
	v_mul_f64 v[55:56], v[55:56], 0.5
	v_fma_f64 v[71:72], -v[55:56], v[61:62], 0.5
	s_delay_alu instid0(VALU_DEP_1) | instskip(SKIP_1) | instid1(VALU_DEP_2)
	v_fma_f64 v[61:62], v[61:62], v[71:72], v[61:62]
	v_fma_f64 v[55:56], v[55:56], v[71:72], v[55:56]
	v_fma_f64 v[71:72], -v[61:62], v[61:62], v[51:52]
	s_delay_alu instid0(VALU_DEP_1) | instskip(NEXT) | instid1(VALU_DEP_1)
	v_fma_f64 v[61:62], v[71:72], v[55:56], v[61:62]
	v_fma_f64 v[71:72], -v[61:62], v[61:62], v[51:52]
	s_delay_alu instid0(VALU_DEP_1) | instskip(NEXT) | instid1(VALU_DEP_1)
	v_fma_f64 v[55:56], v[71:72], v[55:56], v[61:62]
	v_ldexp_f64 v[55:56], v[55:56], v40
	s_delay_alu instid0(VALU_DEP_1) | instskip(NEXT) | instid1(VALU_DEP_1)
	v_dual_cndmask_b32 v51, v55, v51 :: v_dual_cndmask_b32 v52, v56, v52
	v_mul_f64 v[51:52], v[59:60], v[51:52]
	s_branch .LBB11_3
.LBB11_16:
	s_add_i32 s0, s16, -1
	s_delay_alu instid0(SALU_CYCLE_1) | instskip(NEXT) | instid1(SALU_CYCLE_1)
	s_mul_i32 s0, s0, s18
	v_add_nc_u32_e32 v1, s0, v41
	s_sub_i32 s1, s0, s18
	s_delay_alu instid0(VALU_DEP_1) | instskip(NEXT) | instid1(VALU_DEP_1)
	v_ashrrev_i32_e32 v2, 31, v1
	v_lshlrev_b64 v[61:62], 4, v[1:2]
	s_waitcnt lgkmcnt(0)
	s_delay_alu instid0(VALU_DEP_1) | instskip(NEXT) | instid1(VALU_DEP_2)
	v_add_co_u32 v1, vcc_lo, s4, v61
	v_add_co_ci_u32_e32 v2, vcc_lo, s5, v62, vcc_lo
	s_mov_b32 s4, exec_lo
	global_load_b128 v[25:28], v[1:2], off
	v_add_nc_u32_e32 v1, s1, v41
	s_delay_alu instid0(VALU_DEP_1) | instskip(NEXT) | instid1(VALU_DEP_1)
	v_ashrrev_i32_e32 v2, 31, v1
	v_lshlrev_b64 v[65:66], 4, v[1:2]
	v_mad_u64_u32 v[1:2], null, s20, s17, v[41:42]
	s_delay_alu instid0(VALU_DEP_2) | instskip(NEXT) | instid1(VALU_DEP_3)
	v_add_co_u32 v55, vcc_lo, s6, v65
	v_add_co_ci_u32_e32 v56, vcc_lo, s7, v66, vcc_lo
	s_delay_alu instid0(VALU_DEP_3) | instskip(SKIP_2) | instid1(VALU_DEP_1)
	v_ashrrev_i32_e32 v2, 31, v1
	global_load_b128 v[29:32], v[55:56], off
	v_lshlrev_b64 v[37:38], 4, v[1:2]
	v_add_co_u32 v39, vcc_lo, s12, v37
	s_delay_alu instid0(VALU_DEP_2)
	v_add_co_ci_u32_e32 v40, vcc_lo, s13, v38, vcc_lo
	v_add_co_u32 v67, vcc_lo, s6, v61
	v_add_co_ci_u32_e32 v68, vcc_lo, s7, v62, vcc_lo
	v_add_co_u32 v59, vcc_lo, s8, v61
	;; [unrolled: 2-line block ×5, first 2 shown]
	v_add_co_ci_u32_e32 v48, vcc_lo, s11, v66, vcc_lo
	s_waitcnt vmcnt(1)
	v_mul_f64 v[49:50], v[25:26], -v[27:28]
	v_mul_f64 v[51:52], v[27:28], v[27:28]
	s_delay_alu instid0(VALU_DEP_2) | instskip(NEXT) | instid1(VALU_DEP_2)
	v_fma_f64 v[49:50], v[27:28], v[25:26], v[49:50]
	v_fma_f64 v[51:52], v[25:26], v[25:26], v[51:52]
	s_waitcnt vmcnt(0)
	s_delay_alu instid0(VALU_DEP_2) | instskip(NEXT) | instid1(VALU_DEP_1)
	v_fma_f64 v[49:50], v[31:32], v[29:30], v[49:50]
	v_fma_f64 v[63:64], v[29:30], -v[31:32], v[49:50]
	v_add_nc_u32_e32 v42, s17, v1
	s_delay_alu instid0(VALU_DEP_4) | instskip(NEXT) | instid1(VALU_DEP_2)
	v_fma_f64 v[49:50], v[29:30], v[29:30], v[51:52]
	v_ashrrev_i32_e32 v43, 31, v42
	s_delay_alu instid0(VALU_DEP_1) | instskip(NEXT) | instid1(VALU_DEP_1)
	v_lshlrev_b64 v[1:2], 4, v[42:43]
	v_add_co_u32 v43, vcc_lo, s12, v1
	s_delay_alu instid0(VALU_DEP_2)
	v_add_co_ci_u32_e32 v44, vcc_lo, s13, v2, vcc_lo
	global_load_b128 v[33:36], v[67:68], off
	s_clause 0x1
	global_load_b128 v[21:24], v[57:58], off
	global_load_b128 v[17:20], v[59:60], off
	s_clause 0x1
	global_load_b128 v[13:16], v[47:48], off
	;; [unrolled: 3-line block ×3, first 2 shown]
	global_load_b128 v[1:4], v[43:44], off
	v_cmp_gt_f64_e32 vcc_lo, 0, v[63:64]
	v_xor_b32_e32 v53, 0x80000000, v64
	v_fma_f64 v[51:52], v[31:32], v[31:32], v[49:50]
                                        ; implicit-def: $vgpr49_vgpr50
	s_delay_alu instid0(VALU_DEP_2) | instskip(NEXT) | instid1(VALU_DEP_1)
	v_dual_cndmask_b32 v54, v64, v53 :: v_dual_cndmask_b32 v53, v63, v63
	v_cmpx_ngt_f64_e32 v[51:52], v[53:54]
	s_xor_b32 s4, exec_lo, s4
	s_cbranch_execz .LBB11_20
; %bb.17:
	v_mov_b32_e32 v49, 0
	v_mov_b32_e32 v50, 0
	s_mov_b32 s5, exec_lo
	v_cmpx_neq_f64_e32 0, v[63:64]
	s_cbranch_execz .LBB11_19
; %bb.18:
	v_div_scale_f64 v[49:50], null, v[53:54], v[53:54], v[51:52]
	v_div_scale_f64 v[71:72], vcc_lo, v[51:52], v[53:54], v[51:52]
	s_delay_alu instid0(VALU_DEP_2) | instskip(SKIP_2) | instid1(VALU_DEP_1)
	v_rcp_f64_e32 v[63:64], v[49:50]
	s_waitcnt_depctr 0xfff
	v_fma_f64 v[69:70], -v[49:50], v[63:64], 1.0
	v_fma_f64 v[63:64], v[63:64], v[69:70], v[63:64]
	s_delay_alu instid0(VALU_DEP_1) | instskip(NEXT) | instid1(VALU_DEP_1)
	v_fma_f64 v[69:70], -v[49:50], v[63:64], 1.0
	v_fma_f64 v[63:64], v[63:64], v[69:70], v[63:64]
	s_delay_alu instid0(VALU_DEP_1) | instskip(NEXT) | instid1(VALU_DEP_1)
	v_mul_f64 v[69:70], v[71:72], v[63:64]
	v_fma_f64 v[49:50], -v[49:50], v[69:70], v[71:72]
	s_delay_alu instid0(VALU_DEP_1) | instskip(NEXT) | instid1(VALU_DEP_1)
	v_div_fmas_f64 v[49:50], v[49:50], v[63:64], v[69:70]
	v_div_fixup_f64 v[49:50], v[49:50], v[53:54], v[51:52]
	s_delay_alu instid0(VALU_DEP_1) | instskip(NEXT) | instid1(VALU_DEP_1)
	v_fma_f64 v[49:50], v[49:50], v[49:50], 1.0
	v_cmp_gt_f64_e32 vcc_lo, 0x10000000, v[49:50]
	v_cndmask_b32_e64 v51, 0, 1, vcc_lo
	s_delay_alu instid0(VALU_DEP_1) | instskip(NEXT) | instid1(VALU_DEP_1)
	v_lshlrev_b32_e32 v51, 8, v51
	v_ldexp_f64 v[49:50], v[49:50], v51
	s_delay_alu instid0(VALU_DEP_1) | instskip(SKIP_3) | instid1(VALU_DEP_1)
	v_rsq_f64_e32 v[51:52], v[49:50]
	s_waitcnt_depctr 0xfff
	v_mul_f64 v[63:64], v[49:50], v[51:52]
	v_mul_f64 v[51:52], v[51:52], 0.5
	v_fma_f64 v[69:70], -v[51:52], v[63:64], 0.5
	s_delay_alu instid0(VALU_DEP_1) | instskip(SKIP_1) | instid1(VALU_DEP_2)
	v_fma_f64 v[63:64], v[63:64], v[69:70], v[63:64]
	v_fma_f64 v[51:52], v[51:52], v[69:70], v[51:52]
	v_fma_f64 v[69:70], -v[63:64], v[63:64], v[49:50]
	s_delay_alu instid0(VALU_DEP_1) | instskip(NEXT) | instid1(VALU_DEP_1)
	v_fma_f64 v[63:64], v[69:70], v[51:52], v[63:64]
	v_fma_f64 v[69:70], -v[63:64], v[63:64], v[49:50]
	s_delay_alu instid0(VALU_DEP_1) | instskip(SKIP_2) | instid1(VALU_DEP_2)
	v_fma_f64 v[51:52], v[69:70], v[51:52], v[63:64]
	v_cndmask_b32_e64 v63, 0, 0xffffff80, vcc_lo
	v_cmp_class_f64_e64 vcc_lo, v[49:50], 0x260
	v_ldexp_f64 v[51:52], v[51:52], v63
	s_delay_alu instid0(VALU_DEP_1) | instskip(NEXT) | instid1(VALU_DEP_1)
	v_dual_cndmask_b32 v50, v52, v50 :: v_dual_cndmask_b32 v49, v51, v49
	v_mul_f64 v[49:50], v[53:54], v[49:50]
.LBB11_19:
	s_or_b32 exec_lo, exec_lo, s5
                                        ; implicit-def: $vgpr51_vgpr52
                                        ; implicit-def: $vgpr53_vgpr54
.LBB11_20:
	s_and_not1_saveexec_b32 s4, s4
	s_cbranch_execz .LBB11_22
; %bb.21:
	v_div_scale_f64 v[49:50], null, v[51:52], v[51:52], v[53:54]
	v_div_scale_f64 v[71:72], vcc_lo, v[53:54], v[51:52], v[53:54]
	s_delay_alu instid0(VALU_DEP_2) | instskip(SKIP_2) | instid1(VALU_DEP_1)
	v_rcp_f64_e32 v[63:64], v[49:50]
	s_waitcnt_depctr 0xfff
	v_fma_f64 v[69:70], -v[49:50], v[63:64], 1.0
	v_fma_f64 v[63:64], v[63:64], v[69:70], v[63:64]
	s_delay_alu instid0(VALU_DEP_1) | instskip(NEXT) | instid1(VALU_DEP_1)
	v_fma_f64 v[69:70], -v[49:50], v[63:64], 1.0
	v_fma_f64 v[63:64], v[63:64], v[69:70], v[63:64]
	s_delay_alu instid0(VALU_DEP_1) | instskip(NEXT) | instid1(VALU_DEP_1)
	v_mul_f64 v[69:70], v[71:72], v[63:64]
	v_fma_f64 v[49:50], -v[49:50], v[69:70], v[71:72]
	s_delay_alu instid0(VALU_DEP_1) | instskip(NEXT) | instid1(VALU_DEP_1)
	v_div_fmas_f64 v[49:50], v[49:50], v[63:64], v[69:70]
	v_div_fixup_f64 v[49:50], v[49:50], v[51:52], v[53:54]
	s_delay_alu instid0(VALU_DEP_1) | instskip(NEXT) | instid1(VALU_DEP_1)
	v_fma_f64 v[49:50], v[49:50], v[49:50], 1.0
	v_cmp_gt_f64_e32 vcc_lo, 0x10000000, v[49:50]
	v_cndmask_b32_e64 v53, 0, 1, vcc_lo
	s_delay_alu instid0(VALU_DEP_1) | instskip(NEXT) | instid1(VALU_DEP_1)
	v_lshlrev_b32_e32 v53, 8, v53
	v_ldexp_f64 v[49:50], v[49:50], v53
	s_delay_alu instid0(VALU_DEP_1) | instskip(SKIP_3) | instid1(VALU_DEP_1)
	v_rsq_f64_e32 v[53:54], v[49:50]
	s_waitcnt_depctr 0xfff
	v_mul_f64 v[63:64], v[49:50], v[53:54]
	v_mul_f64 v[53:54], v[53:54], 0.5
	v_fma_f64 v[69:70], -v[53:54], v[63:64], 0.5
	s_delay_alu instid0(VALU_DEP_1) | instskip(SKIP_1) | instid1(VALU_DEP_2)
	v_fma_f64 v[63:64], v[63:64], v[69:70], v[63:64]
	v_fma_f64 v[53:54], v[53:54], v[69:70], v[53:54]
	v_fma_f64 v[69:70], -v[63:64], v[63:64], v[49:50]
	s_delay_alu instid0(VALU_DEP_1) | instskip(NEXT) | instid1(VALU_DEP_1)
	v_fma_f64 v[63:64], v[69:70], v[53:54], v[63:64]
	v_fma_f64 v[69:70], -v[63:64], v[63:64], v[49:50]
	s_delay_alu instid0(VALU_DEP_1) | instskip(SKIP_2) | instid1(VALU_DEP_2)
	v_fma_f64 v[53:54], v[69:70], v[53:54], v[63:64]
	v_cndmask_b32_e64 v63, 0, 0xffffff80, vcc_lo
	v_cmp_class_f64_e64 vcc_lo, v[49:50], 0x260
	v_ldexp_f64 v[53:54], v[53:54], v63
	s_delay_alu instid0(VALU_DEP_1) | instskip(NEXT) | instid1(VALU_DEP_1)
	v_dual_cndmask_b32 v50, v54, v50 :: v_dual_cndmask_b32 v49, v53, v49
	v_mul_f64 v[49:50], v[51:52], v[49:50]
.LBB11_22:
	s_or_b32 exec_lo, exec_lo, s4
	s_delay_alu instid0(VALU_DEP_1) | instskip(SKIP_2) | instid1(VALU_DEP_1)
	v_cmp_gt_f64_e32 vcc_lo, 0x10000000, v[49:50]
	s_sub_i32 s1, s1, s18
	v_cndmask_b32_e64 v51, 0, 1, vcc_lo
	v_lshlrev_b32_e32 v51, 8, v51
	s_delay_alu instid0(VALU_DEP_1) | instskip(NEXT) | instid1(VALU_DEP_1)
	v_ldexp_f64 v[49:50], v[49:50], v51
	v_rsq_f64_e32 v[51:52], v[49:50]
	s_waitcnt_depctr 0xfff
	v_mul_f64 v[53:54], v[49:50], v[51:52]
	v_mul_f64 v[51:52], v[51:52], 0.5
	s_delay_alu instid0(VALU_DEP_1) | instskip(NEXT) | instid1(VALU_DEP_1)
	v_fma_f64 v[63:64], -v[51:52], v[53:54], 0.5
	v_fma_f64 v[53:54], v[53:54], v[63:64], v[53:54]
	v_fma_f64 v[51:52], v[51:52], v[63:64], v[51:52]
	s_delay_alu instid0(VALU_DEP_2) | instskip(NEXT) | instid1(VALU_DEP_1)
	v_fma_f64 v[63:64], -v[53:54], v[53:54], v[49:50]
	v_fma_f64 v[53:54], v[63:64], v[51:52], v[53:54]
	s_delay_alu instid0(VALU_DEP_1) | instskip(NEXT) | instid1(VALU_DEP_1)
	v_fma_f64 v[63:64], -v[53:54], v[53:54], v[49:50]
	v_fma_f64 v[51:52], v[63:64], v[51:52], v[53:54]
	v_cndmask_b32_e64 v53, 0, 0xffffff80, vcc_lo
	v_cmp_class_f64_e64 vcc_lo, v[49:50], 0x260
	s_delay_alu instid0(VALU_DEP_2) | instskip(NEXT) | instid1(VALU_DEP_1)
	v_ldexp_f64 v[51:52], v[51:52], v53
	v_dual_cndmask_b32 v50, v52, v50 :: v_dual_cndmask_b32 v49, v51, v49
	s_delay_alu instid0(VALU_DEP_1) | instskip(NEXT) | instid1(VALU_DEP_1)
	v_fma_f64 v[51:52], v[49:50], v[49:50], 0
	v_div_scale_f64 v[53:54], null, v[51:52], v[51:52], 1.0
	v_div_scale_f64 v[71:72], vcc_lo, 1.0, v[51:52], 1.0
	s_delay_alu instid0(VALU_DEP_2) | instskip(SKIP_2) | instid1(VALU_DEP_1)
	v_rcp_f64_e32 v[63:64], v[53:54]
	s_waitcnt_depctr 0xfff
	v_fma_f64 v[69:70], -v[53:54], v[63:64], 1.0
	v_fma_f64 v[63:64], v[63:64], v[69:70], v[63:64]
	s_delay_alu instid0(VALU_DEP_1) | instskip(NEXT) | instid1(VALU_DEP_1)
	v_fma_f64 v[69:70], -v[53:54], v[63:64], 1.0
	v_fma_f64 v[63:64], v[63:64], v[69:70], v[63:64]
	s_delay_alu instid0(VALU_DEP_1) | instskip(NEXT) | instid1(VALU_DEP_1)
	v_mul_f64 v[69:70], v[71:72], v[63:64]
	v_fma_f64 v[53:54], -v[53:54], v[69:70], v[71:72]
	v_mul_f64 v[71:72], 0x80000000, v[29:30]
	s_delay_alu instid0(VALU_DEP_2) | instskip(SKIP_1) | instid1(VALU_DEP_3)
	v_div_fmas_f64 v[53:54], v[53:54], v[63:64], v[69:70]
	v_mul_f64 v[63:64], 0x80000000, v[31:32]
	v_fma_f64 v[69:70], -v[31:32], v[49:50], v[71:72]
	s_delay_alu instid0(VALU_DEP_3) | instskip(SKIP_1) | instid1(VALU_DEP_4)
	v_div_fixup_f64 v[73:74], v[53:54], v[51:52], 1.0
	v_mul_f64 v[53:54], 0x80000000, v[27:28]
	v_fma_f64 v[63:64], v[29:30], v[49:50], v[63:64]
	s_delay_alu instid0(VALU_DEP_3) | instskip(SKIP_1) | instid1(VALU_DEP_4)
	v_mul_f64 v[51:52], v[69:70], v[73:74]
	v_mul_f64 v[69:70], 0x80000000, v[25:26]
	v_fma_f64 v[71:72], v[25:26], v[49:50], v[53:54]
	s_delay_alu instid0(VALU_DEP_4) | instskip(SKIP_1) | instid1(VALU_DEP_4)
	v_mul_f64 v[53:54], v[63:64], v[73:74]
	s_waitcnt vmcnt(6)
	v_mul_f64 v[63:64], v[33:34], -v[51:52]
	s_delay_alu instid0(VALU_DEP_4) | instskip(NEXT) | instid1(VALU_DEP_4)
	v_fma_f64 v[75:76], -v[27:28], v[49:50], v[69:70]
	v_mul_f64 v[49:50], v[71:72], v[73:74]
	v_mul_f64 v[77:78], v[35:36], v[51:52]
	s_delay_alu instid0(VALU_DEP_4)
	v_fma_f64 v[79:80], v[35:36], v[53:54], v[63:64]
	v_add_co_u32 v63, vcc_lo, s2, v61
	v_add_co_ci_u32_e32 v64, vcc_lo, s3, v62, vcc_lo
	v_mul_f64 v[61:62], v[75:76], v[73:74]
	v_fma_f64 v[73:74], v[33:34], v[53:54], v[77:78]
	v_add_co_u32 v65, vcc_lo, s2, v65
	global_load_b128 v[69:72], v[63:64], off
	v_add_co_ci_u32_e32 v66, vcc_lo, s3, v66, vcc_lo
	s_waitcnt vmcnt(6)
	v_fma_f64 v[75:76], -v[23:24], v[49:50], v[79:80]
	global_load_b128 v[77:80], v[65:66], off
	v_mul_f64 v[81:82], v[61:62], -v[27:28]
	v_fma_f64 v[73:74], -v[21:22], v[49:50], v[73:74]
	v_mul_f64 v[83:84], v[25:26], v[61:62]
	v_fma_f64 v[75:76], v[21:22], v[61:62], v[75:76]
	s_delay_alu instid0(VALU_DEP_4) | instskip(NEXT) | instid1(VALU_DEP_4)
	v_fma_f64 v[25:26], v[25:26], v[49:50], v[81:82]
	v_fma_f64 v[73:74], v[23:24], -v[61:62], v[73:74]
	s_delay_alu instid0(VALU_DEP_4) | instskip(NEXT) | instid1(VALU_DEP_4)
	v_fma_f64 v[27:28], v[27:28], v[49:50], v[83:84]
	v_mul_f64 v[85:86], v[75:76], v[75:76]
	s_delay_alu instid0(VALU_DEP_4) | instskip(NEXT) | instid1(VALU_DEP_3)
	v_fma_f64 v[25:26], v[29:30], v[53:54], v[25:26]
	v_fma_f64 v[27:28], v[31:32], v[53:54], v[27:28]
	s_delay_alu instid0(VALU_DEP_3) | instskip(NEXT) | instid1(VALU_DEP_3)
	v_fma_f64 v[81:82], v[73:74], v[73:74], v[85:86]
	v_fma_f64 v[25:26], -v[31:32], v[51:52], v[25:26]
	s_delay_alu instid0(VALU_DEP_3)
	v_fma_f64 v[27:28], v[29:30], v[51:52], v[27:28]
	s_clause 0x1
	global_store_b128 v[55:56], v[25:28], off
	global_store_b128 v[67:68], v[73:76], off
	v_div_scale_f64 v[83:84], null, v[81:82], v[81:82], 1.0
	global_load_b128 v[25:28], v[55:56], off
	v_mul_f64 v[55:56], v[61:62], -v[35:36]
	v_mul_f64 v[67:68], v[33:34], v[61:62]
	v_rcp_f64_e32 v[29:30], v[83:84]
	s_delay_alu instid0(VALU_DEP_2) | instskip(NEXT) | instid1(VALU_DEP_2)
	v_fma_f64 v[33:34], v[33:34], v[49:50], v[55:56]
	v_fma_f64 v[35:36], v[35:36], v[49:50], v[67:68]
	s_waitcnt vmcnt(7)
	v_mul_f64 v[67:68], v[19:20], v[51:52]
	s_waitcnt_depctr 0xfff
	v_fma_f64 v[31:32], -v[83:84], v[29:30], 1.0
	v_fma_f64 v[33:34], v[21:22], v[53:54], v[33:34]
	v_fma_f64 v[35:36], v[23:24], v[53:54], v[35:36]
	s_delay_alu instid0(VALU_DEP_3)
	v_fma_f64 v[29:30], v[29:30], v[31:32], v[29:30]
	s_waitcnt vmcnt(2)
	v_mul_f64 v[31:32], v[61:62], -v[71:72]
	v_mul_f64 v[85:86], v[61:62], v[69:70]
	v_mul_f64 v[87:88], v[51:52], v[71:72]
	v_mul_f64 v[89:90], v[69:70], -v[51:52]
	v_fma_f64 v[55:56], -v[83:84], v[29:30], 1.0
	v_fma_f64 v[91:92], v[69:70], v[49:50], v[31:32]
	v_fma_f64 v[85:86], v[71:72], v[49:50], v[85:86]
	v_fma_f64 v[31:32], v[69:70], v[53:54], v[87:88]
	v_fma_f64 v[69:70], v[71:72], v[53:54], v[89:90]
	v_mul_f64 v[71:72], v[17:18], -v[51:52]
	v_div_scale_f64 v[87:88], vcc_lo, 1.0, v[81:82], 1.0
	v_fma_f64 v[55:56], v[29:30], v[55:56], v[29:30]
	v_fma_f64 v[29:30], v[17:18], v[53:54], v[67:68]
	s_waitcnt vmcnt(1)
	v_fma_f64 v[31:32], -v[77:78], v[49:50], v[31:32]
	v_fma_f64 v[69:70], -v[79:80], v[49:50], v[69:70]
	v_fma_f64 v[67:68], v[19:20], v[53:54], v[71:72]
	v_mul_f64 v[71:72], v[87:88], v[55:56]
	v_fma_f64 v[89:90], -v[13:14], v[49:50], v[29:30]
	v_fma_f64 v[29:30], -v[23:24], v[51:52], v[33:34]
	v_fma_f64 v[69:70], v[77:78], v[61:62], v[69:70]
	v_fma_f64 v[67:68], -v[15:16], v[49:50], v[67:68]
	v_fma_f64 v[83:84], -v[83:84], v[71:72], v[87:88]
	v_fma_f64 v[87:88], v[79:80], -v[61:62], v[31:32]
	v_fma_f64 v[31:32], v[21:22], v[51:52], v[35:36]
	v_fma_f64 v[21:22], v[15:16], -v[61:62], v[89:90]
	v_mul_f64 v[33:34], v[75:76], v[69:70]
	v_fma_f64 v[23:24], v[13:14], v[61:62], v[67:68]
	v_fma_f64 v[67:68], v[77:78], v[53:54], v[91:92]
	s_clause 0x1
	global_store_b128 v[57:58], v[29:32], off
	global_store_b128 v[59:60], v[21:24], off
	v_div_fmas_f64 v[35:36], v[83:84], v[55:56], v[71:72]
	v_mul_f64 v[55:56], v[75:76], -v[87:88]
	v_fma_f64 v[71:72], v[79:80], v[53:54], v[85:86]
	v_fma_f64 v[33:34], v[87:88], v[73:74], v[33:34]
	global_load_b128 v[21:24], v[57:58], off
	v_fma_f64 v[29:30], -v[79:80], v[51:52], v[67:68]
	v_mul_f64 v[79:80], v[9:10], -v[51:52]
	v_div_fixup_f64 v[35:36], v[35:36], v[81:82], 1.0
	v_fma_f64 v[55:56], v[69:70], v[73:74], v[55:56]
	v_fma_f64 v[31:32], v[77:78], v[51:52], v[71:72]
	s_delay_alu instid0(VALU_DEP_3) | instskip(NEXT) | instid1(VALU_DEP_3)
	v_mul_f64 v[33:34], v[35:36], v[33:34]
	v_mul_f64 v[35:36], v[35:36], v[55:56]
	s_waitcnt vmcnt(1)
	v_mul_f64 v[55:56], v[27:28], v[27:28]
	s_clause 0x1
	global_store_b128 v[65:66], v[29:32], off
	global_store_b128 v[63:64], v[33:36], off
	global_load_b128 v[29:32], v[65:66], off
	v_fma_f64 v[59:60], v[25:26], v[25:26], v[55:56]
	s_delay_alu instid0(VALU_DEP_1) | instskip(NEXT) | instid1(VALU_DEP_1)
	v_div_scale_f64 v[67:68], null, v[59:60], v[59:60], 1.0
	v_rcp_f64_e32 v[55:56], v[67:68]
	s_waitcnt_depctr 0xfff
	v_fma_f64 v[57:58], -v[67:68], v[55:56], 1.0
	s_delay_alu instid0(VALU_DEP_1) | instskip(SKIP_3) | instid1(VALU_DEP_1)
	v_fma_f64 v[69:70], v[55:56], v[57:58], v[55:56]
	v_add_nc_u32_e32 v55, s1, v41
	s_sub_i32 s1, s1, s18
	s_cmp_lt_i32 s16, 5
	v_ashrrev_i32_e32 v56, 31, v55
	s_delay_alu instid0(VALU_DEP_1) | instskip(NEXT) | instid1(VALU_DEP_1)
	v_lshlrev_b64 v[71:72], 4, v[55:56]
	v_add_co_u32 v55, vcc_lo, s6, v71
	s_delay_alu instid0(VALU_DEP_2) | instskip(SKIP_3) | instid1(VALU_DEP_1)
	v_add_co_ci_u32_e32 v56, vcc_lo, s7, v72, vcc_lo
	v_div_scale_f64 v[75:76], vcc_lo, 1.0, v[59:60], 1.0
	global_load_b128 v[55:58], v[55:56], off
	v_fma_f64 v[73:74], -v[67:68], v[69:70], 1.0
	v_fma_f64 v[69:70], v[69:70], v[73:74], v[69:70]
	s_waitcnt vmcnt(2)
	v_mul_f64 v[73:74], v[21:22], v[35:36]
	v_mul_f64 v[35:36], v[35:36], -v[23:24]
	s_delay_alu instid0(VALU_DEP_3) | instskip(NEXT) | instid1(VALU_DEP_3)
	v_mul_f64 v[77:78], v[75:76], v[69:70]
	v_fma_f64 v[23:24], v[23:24], v[33:34], v[73:74]
	s_delay_alu instid0(VALU_DEP_3) | instskip(SKIP_4) | instid1(VALU_DEP_4)
	v_fma_f64 v[21:22], v[21:22], v[33:34], v[35:36]
	v_mul_f64 v[33:34], v[61:62], -v[19:20]
	v_mul_f64 v[35:36], v[17:18], v[61:62]
	v_mul_f64 v[73:74], v[11:12], v[51:52]
	v_fma_f64 v[67:68], -v[67:68], v[77:78], v[75:76]
	v_fma_f64 v[17:18], v[17:18], v[49:50], v[33:34]
	s_delay_alu instid0(VALU_DEP_4)
	v_fma_f64 v[19:20], v[19:20], v[49:50], v[35:36]
	s_waitcnt vmcnt(1)
	v_add_f64 v[23:24], v[31:32], -v[23:24]
	v_add_f64 v[21:22], v[29:30], -v[21:22]
	v_fma_f64 v[29:30], v[9:10], v[53:54], v[73:74]
	v_fma_f64 v[31:32], v[11:12], v[53:54], v[79:80]
	v_div_fmas_f64 v[33:34], v[67:68], v[69:70], v[77:78]
	v_fma_f64 v[17:18], v[13:14], v[53:54], v[17:18]
	v_fma_f64 v[19:20], v[15:16], v[53:54], v[19:20]
	v_mul_f64 v[35:36], v[23:24], v[27:28]
	v_mul_f64 v[27:28], v[27:28], -v[21:22]
	v_fma_f64 v[29:30], -v[5:6], v[49:50], v[29:30]
	v_fma_f64 v[31:32], -v[7:8], v[49:50], v[31:32]
	v_div_fixup_f64 v[33:34], v[33:34], v[59:60], 1.0
	v_fma_f64 v[15:16], -v[15:16], v[51:52], v[17:18]
	v_fma_f64 v[17:18], v[13:14], v[51:52], v[19:20]
	v_fma_f64 v[35:36], v[21:22], v[25:26], v[35:36]
	;; [unrolled: 1-line block ×3, first 2 shown]
	v_add_co_u32 v23, vcc_lo, s8, v71
	v_add_co_ci_u32_e32 v24, vcc_lo, s9, v72, vcc_lo
	v_fma_f64 v[19:20], v[7:8], -v[61:62], v[29:30]
	v_fma_f64 v[21:22], v[5:6], v[61:62], v[31:32]
	v_add_co_u32 v13, vcc_lo, s10, v71
	global_load_b128 v[23:26], v[23:24], off
	v_add_co_ci_u32_e32 v14, vcc_lo, s11, v72, vcc_lo
	s_clause 0x1
	global_store_b128 v[47:48], v[15:18], off
	global_store_b128 v[45:46], v[19:22], off
	v_mul_f64 v[27:28], v[35:36], v[33:34]
	v_mul_f64 v[29:30], v[59:60], v[33:34]
	global_load_b128 v[13:16], v[13:14], off
	v_add_co_u32 v35, vcc_lo, s2, v71
	v_add_co_ci_u32_e32 v36, vcc_lo, s3, v72, vcc_lo
	global_store_b128 v[65:66], v[27:30], off
	s_clause 0x1
	global_load_b128 v[17:20], v[63:64], off
	global_load_b128 v[31:34], v[35:36], off
	s_waitcnt vmcnt(4)
	v_mul_f64 v[21:22], v[57:58], v[57:58]
	s_delay_alu instid0(VALU_DEP_1) | instskip(NEXT) | instid1(VALU_DEP_1)
	v_fma_f64 v[21:22], v[55:56], v[55:56], v[21:22]
	v_div_scale_f64 v[59:60], null, v[21:22], v[21:22], 1.0
	s_delay_alu instid0(VALU_DEP_1) | instskip(SKIP_2) | instid1(VALU_DEP_1)
	v_rcp_f64_e32 v[45:46], v[59:60]
	s_waitcnt_depctr 0xfff
	v_fma_f64 v[47:48], -v[59:60], v[45:46], 1.0
	v_fma_f64 v[67:68], v[45:46], v[47:48], v[45:46]
	v_add_nc_u32_e32 v45, s1, v41
	s_delay_alu instid0(VALU_DEP_1) | instskip(NEXT) | instid1(VALU_DEP_1)
	v_ashrrev_i32_e32 v46, 31, v45
	v_lshlrev_b64 v[73:74], 4, v[45:46]
	s_delay_alu instid0(VALU_DEP_1) | instskip(NEXT) | instid1(VALU_DEP_2)
	v_add_co_u32 v45, vcc_lo, s6, v73
	v_add_co_ci_u32_e32 v46, vcc_lo, s7, v74, vcc_lo
	v_div_scale_f64 v[75:76], vcc_lo, 1.0, v[21:22], 1.0
	global_load_b128 v[45:48], v[45:46], off
	s_waitcnt vmcnt(4)
	v_mul_f64 v[71:72], v[29:30], -v[25:26]
	v_mul_f64 v[29:30], v[23:24], v[29:30]
	v_fma_f64 v[69:70], -v[59:60], v[67:68], 1.0
	s_delay_alu instid0(VALU_DEP_3) | instskip(NEXT) | instid1(VALU_DEP_3)
	v_fma_f64 v[23:24], v[23:24], v[27:28], v[71:72]
	v_fma_f64 v[25:26], v[25:26], v[27:28], v[29:30]
	s_delay_alu instid0(VALU_DEP_3)
	v_fma_f64 v[67:68], v[67:68], v[69:70], v[67:68]
	s_waitcnt vmcnt(2)
	v_mul_f64 v[27:28], v[19:20], v[13:14]
	v_mul_f64 v[19:20], v[19:20], -v[15:16]
	s_waitcnt vmcnt(1)
	v_add_f64 v[23:24], v[31:32], -v[23:24]
	v_add_f64 v[25:26], v[33:34], -v[25:26]
	v_mul_f64 v[29:30], v[75:76], v[67:68]
	v_fma_f64 v[15:16], v[15:16], v[17:18], v[27:28]
	v_fma_f64 v[13:14], v[13:14], v[17:18], v[19:20]
	v_mul_f64 v[19:20], v[61:62], -v[11:12]
	s_delay_alu instid0(VALU_DEP_4) | instskip(NEXT) | instid1(VALU_DEP_4)
	v_fma_f64 v[17:18], -v[59:60], v[29:30], v[75:76]
	v_add_f64 v[15:16], v[25:26], -v[15:16]
	s_delay_alu instid0(VALU_DEP_4)
	v_add_f64 v[13:14], v[23:24], -v[13:14]
	v_mul_f64 v[23:24], v[9:10], v[61:62]
	v_fma_f64 v[9:10], v[9:10], v[49:50], v[19:20]
	v_div_fmas_f64 v[17:18], v[17:18], v[67:68], v[29:30]
	v_add_co_u32 v19, vcc_lo, s8, v73
	v_add_co_ci_u32_e32 v20, vcc_lo, s9, v74, vcc_lo
	v_add_co_u32 v29, vcc_lo, s10, v73
	v_add_co_ci_u32_e32 v30, vcc_lo, s11, v74, vcc_lo
	;; [unrolled: 2-line block ×3, first 2 shown]
	v_mul_f64 v[25:26], v[15:16], v[57:58]
	v_mul_f64 v[27:28], v[57:58], -v[13:14]
	v_fma_f64 v[11:12], v[11:12], v[49:50], v[23:24]
	v_fma_f64 v[23:24], v[5:6], v[53:54], v[9:10]
	v_div_fixup_f64 v[17:18], v[17:18], v[21:22], 1.0
	v_mul_f64 v[21:22], v[3:4], v[51:52]
	v_fma_f64 v[13:14], v[13:14], v[55:56], v[25:26]
	v_fma_f64 v[15:16], v[15:16], v[55:56], v[27:28]
	v_fma_f64 v[25:26], v[7:8], v[53:54], v[11:12]
	v_mul_f64 v[27:28], v[1:2], -v[51:52]
	global_load_b128 v[9:12], v[19:20], off
	v_mul_f64 v[13:14], v[13:14], v[17:18]
	v_mul_f64 v[15:16], v[17:18], v[15:16]
	v_fma_f64 v[17:18], v[1:2], v[53:54], v[21:22]
	v_fma_f64 v[21:22], -v[7:8], v[51:52], v[23:24]
	v_fma_f64 v[23:24], v[5:6], v[51:52], v[25:26]
	v_fma_f64 v[19:20], v[3:4], v[53:54], v[27:28]
	global_load_b128 v[5:8], v[29:30], off
	v_mad_u64_u32 v[29:30], null, s17, -3, v[42:43]
	s_delay_alu instid0(VALU_DEP_1) | instskip(NEXT) | instid1(VALU_DEP_1)
	v_ashrrev_i32_e32 v30, 31, v29
	v_lshlrev_b64 v[29:30], 4, v[29:30]
	s_delay_alu instid0(VALU_DEP_1) | instskip(NEXT) | instid1(VALU_DEP_2)
	v_add_co_u32 v29, vcc_lo, s12, v29
	v_add_co_ci_u32_e32 v30, vcc_lo, s13, v30, vcc_lo
	global_store_b128 v[35:36], v[13:16], off
	global_load_b128 v[25:28], v[65:66], off
	s_clause 0x1
	global_store_b128 v[39:40], v[21:24], off
	global_store_b128 v[43:44], v[17:20], off
	global_load_b128 v[17:20], v[33:34], off
	global_load_b128 v[21:24], v[29:30], off
	;; [unrolled: 1-line block ×3, first 2 shown]
	s_waitcnt vmcnt(6)
	v_mul_f64 v[35:36], v[47:48], v[47:48]
	s_delay_alu instid0(VALU_DEP_1) | instskip(NEXT) | instid1(VALU_DEP_1)
	v_fma_f64 v[35:36], v[45:46], v[45:46], v[35:36]
	v_div_scale_f64 v[39:40], null, v[35:36], v[35:36], 1.0
	s_delay_alu instid0(VALU_DEP_1) | instskip(SKIP_2) | instid1(VALU_DEP_1)
	v_rcp_f64_e32 v[41:42], v[39:40]
	s_waitcnt_depctr 0xfff
	v_fma_f64 v[43:44], -v[39:40], v[41:42], 1.0
	v_fma_f64 v[41:42], v[41:42], v[43:44], v[41:42]
	s_delay_alu instid0(VALU_DEP_1) | instskip(SKIP_3) | instid1(VALU_DEP_3)
	v_fma_f64 v[51:52], -v[39:40], v[41:42], 1.0
	s_waitcnt vmcnt(5)
	v_mul_f64 v[43:44], v[15:16], -v[11:12]
	v_mul_f64 v[15:16], v[9:10], v[15:16]
	v_fma_f64 v[41:42], v[41:42], v[51:52], v[41:42]
	s_delay_alu instid0(VALU_DEP_3) | instskip(NEXT) | instid1(VALU_DEP_3)
	v_fma_f64 v[9:10], v[9:10], v[13:14], v[43:44]
	v_fma_f64 v[11:12], v[11:12], v[13:14], v[15:16]
	s_waitcnt vmcnt(3)
	v_mul_f64 v[13:14], v[27:28], v[5:6]
	v_mul_f64 v[15:16], v[27:28], -v[7:8]
	v_div_scale_f64 v[27:28], vcc_lo, 1.0, v[35:36], 1.0
	s_waitcnt vmcnt(2)
	v_add_f64 v[9:10], v[17:18], -v[9:10]
	v_add_f64 v[11:12], v[19:20], -v[11:12]
	s_waitcnt vmcnt(0)
	v_mul_f64 v[17:18], v[31:32], -v[23:24]
	v_mul_f64 v[19:20], v[31:32], v[21:22]
	v_fma_f64 v[7:8], v[7:8], v[25:26], v[13:14]
	v_fma_f64 v[5:6], v[5:6], v[25:26], v[15:16]
	v_mul_f64 v[13:14], v[27:28], v[41:42]
	v_fma_f64 v[15:16], v[21:22], v[29:30], v[17:18]
	v_fma_f64 v[17:18], v[23:24], v[29:30], v[19:20]
	v_add_f64 v[7:8], v[11:12], -v[7:8]
	v_add_f64 v[5:6], v[9:10], -v[5:6]
	v_fma_f64 v[9:10], -v[39:40], v[13:14], v[27:28]
	s_delay_alu instid0(VALU_DEP_3) | instskip(NEXT) | instid1(VALU_DEP_3)
	v_add_f64 v[7:8], v[7:8], -v[17:18]
	v_add_f64 v[5:6], v[5:6], -v[15:16]
	s_delay_alu instid0(VALU_DEP_3)
	v_div_fmas_f64 v[9:10], v[9:10], v[41:42], v[13:14]
	v_mul_f64 v[15:16], v[61:62], -v[3:4]
	v_mul_f64 v[17:18], v[1:2], v[61:62]
	v_mul_f64 v[11:12], v[7:8], v[47:48]
	v_mul_f64 v[13:14], v[47:48], -v[5:6]
	v_div_fixup_f64 v[9:10], v[9:10], v[35:36], 1.0
	v_fma_f64 v[1:2], v[1:2], v[49:50], v[15:16]
	v_fma_f64 v[3:4], v[3:4], v[49:50], v[17:18]
	;; [unrolled: 1-line block ×4, first 2 shown]
	s_delay_alu instid0(VALU_DEP_2) | instskip(NEXT) | instid1(VALU_DEP_2)
	v_mul_f64 v[5:6], v[5:6], v[9:10]
	v_mul_f64 v[7:8], v[9:10], v[7:8]
	v_add_co_u32 v9, vcc_lo, s14, v37
	v_add_co_ci_u32_e32 v10, vcc_lo, s15, v38, vcc_lo
	global_store_b128 v[9:10], v[1:4], off
	global_store_b128 v[33:34], v[5:8], off
	s_cbranch_scc1 .LBB11_25
; %bb.23:
	s_add_i32 s4, s16, -5
	s_add_i32 s1, s16, -4
	v_mad_u64_u32 v[1:2], null, s17, s4, v[0:1]
	s_add_i32 s5, s16, -3
	s_delay_alu instid0(VALU_DEP_1)
	v_mad_u64_u32 v[2:3], null, s18, s1, v[0:1]
	v_mad_u64_u32 v[3:4], null, s18, s5, v[0:1]
	;; [unrolled: 1-line block ×4, first 2 shown]
	v_add_nc_u32_e32 v0, s0, v0
.LBB11_24:                              ; =>This Inner Loop Header: Depth=1
	s_delay_alu instid0(VALU_DEP_2)
	v_add_nc_u32_e32 v6, s19, v5
	v_add_nc_u32_e32 v10, s19, v2
	;; [unrolled: 1-line block ×5, first 2 shown]
	v_ashrrev_i32_e32 v7, 31, v6
	v_ashrrev_i32_e32 v11, 31, v10
	;; [unrolled: 1-line block ×5, first 2 shown]
	v_lshlrev_b64 v[26:27], 4, v[6:7]
	v_lshlrev_b64 v[10:11], 4, v[10:11]
	;; [unrolled: 1-line block ×5, first 2 shown]
	v_add_nc_u32_e32 v40, s19, v0
	v_add_co_u32 v6, vcc_lo, s6, v26
	v_add_co_ci_u32_e32 v7, vcc_lo, s7, v27, vcc_lo
	v_add_co_u32 v10, vcc_lo, s2, v10
	v_add_co_ci_u32_e32 v11, vcc_lo, s3, v11, vcc_lo
	global_load_b128 v[6:9], v[6:7], off
	v_add_co_u32 v14, vcc_lo, s8, v26
	v_add_co_ci_u32_e32 v15, vcc_lo, s9, v27, vcc_lo
	global_load_b128 v[10:13], v[10:11], off
	global_load_b128 v[14:17], v[14:15], off
	v_add_co_u32 v18, vcc_lo, s2, v18
	v_add_co_ci_u32_e32 v19, vcc_lo, s3, v19, vcc_lo
	v_add_co_u32 v22, vcc_lo, s10, v26
	v_add_co_ci_u32_e32 v23, vcc_lo, s11, v27, vcc_lo
	global_load_b128 v[18:21], v[18:19], off
	global_load_b128 v[22:25], v[22:23], off
	v_add_co_u32 v30, vcc_lo, s12, v38
	v_add_co_ci_u32_e32 v31, vcc_lo, s13, v39, vcc_lo
	v_add_co_u32 v28, vcc_lo, s2, v28
	v_add_co_ci_u32_e32 v29, vcc_lo, s3, v29, vcc_lo
	;; [unrolled: 2-line block ×3, first 2 shown]
	global_load_b128 v[26:29], v[28:29], off
	global_load_b128 v[30:33], v[30:31], off
	;; [unrolled: 1-line block ×3, first 2 shown]
	v_ashrrev_i32_e32 v41, 31, v40
	v_subrev_nc_u32_e32 v1, s17, v1
	v_subrev_nc_u32_e32 v2, s18, v2
	v_subrev_nc_u32_e32 v3, s18, v3
	v_subrev_nc_u32_e32 v4, s18, v4
	v_lshlrev_b64 v[40:41], 4, v[40:41]
	v_subrev_nc_u32_e32 v0, s18, v0
	v_subrev_nc_u32_e32 v5, s18, v5
	s_add_i32 s1, s1, -1
	s_delay_alu instid0(SALU_CYCLE_1) | instskip(NEXT) | instid1(VALU_DEP_3)
	s_cmp_lg_u32 s1, 0
	v_add_co_u32 v40, vcc_lo, s2, v40
	v_add_co_ci_u32_e32 v41, vcc_lo, s3, v41, vcc_lo
	v_add_co_u32 v42, vcc_lo, s14, v38
	v_add_co_ci_u32_e32 v43, vcc_lo, s15, v39, vcc_lo
	global_load_b128 v[38:41], v[40:41], off
	global_load_b128 v[42:45], v[42:43], off
	s_waitcnt vmcnt(9)
	v_mul_f64 v[48:49], v[8:9], v[8:9]
	s_waitcnt vmcnt(7)
	v_mul_f64 v[54:55], v[12:13], v[14:15]
	v_mul_f64 v[12:13], v[12:13], -v[16:17]
	s_waitcnt vmcnt(5)
	v_mul_f64 v[58:59], v[20:21], -v[24:25]
	v_mul_f64 v[20:21], v[20:21], v[22:23]
	v_fma_f64 v[48:49], v[6:7], v[6:7], v[48:49]
	v_fma_f64 v[16:17], v[16:17], v[10:11], v[54:55]
	;; [unrolled: 1-line block ×3, first 2 shown]
	s_waitcnt vmcnt(3)
	v_mul_f64 v[14:15], v[28:29], -v[32:33]
	v_mul_f64 v[28:29], v[28:29], v[30:31]
	v_fma_f64 v[22:23], v[22:23], v[18:19], v[58:59]
	v_fma_f64 v[18:19], v[24:25], v[18:19], v[20:21]
	s_waitcnt vmcnt(0)
	v_mul_f64 v[24:25], v[40:41], -v[44:45]
	v_div_scale_f64 v[50:51], null, v[48:49], v[48:49], 1.0
	v_add_f64 v[16:17], v[36:37], -v[16:17]
	v_add_f64 v[10:11], v[34:35], -v[10:11]
	v_mul_f64 v[34:35], v[40:41], v[42:43]
	v_fma_f64 v[14:15], v[30:31], v[26:27], v[14:15]
	v_fma_f64 v[26:27], v[32:33], v[26:27], v[28:29]
	v_div_scale_f64 v[28:29], vcc_lo, 1.0, v[48:49], 1.0
	v_rcp_f64_e32 v[52:53], v[50:51]
	v_add_f64 v[16:17], v[16:17], -v[18:19]
	v_add_f64 v[10:11], v[10:11], -v[22:23]
	v_fma_f64 v[18:19], v[42:43], v[38:39], v[24:25]
	s_waitcnt_depctr 0xfff
	v_fma_f64 v[56:57], -v[50:51], v[52:53], 1.0
	v_add_f64 v[16:17], v[16:17], -v[26:27]
	v_add_f64 v[10:11], v[10:11], -v[14:15]
	s_delay_alu instid0(VALU_DEP_3) | instskip(NEXT) | instid1(VALU_DEP_2)
	v_fma_f64 v[12:13], v[52:53], v[56:57], v[52:53]
	v_add_f64 v[10:11], v[10:11], -v[18:19]
	s_delay_alu instid0(VALU_DEP_2) | instskip(NEXT) | instid1(VALU_DEP_1)
	v_fma_f64 v[20:21], -v[50:51], v[12:13], 1.0
	v_fma_f64 v[12:13], v[12:13], v[20:21], v[12:13]
	v_fma_f64 v[20:21], v[44:45], v[38:39], v[34:35]
	s_delay_alu instid0(VALU_DEP_2) | instskip(NEXT) | instid1(VALU_DEP_2)
	v_mul_f64 v[14:15], v[28:29], v[12:13]
	v_add_f64 v[16:17], v[16:17], -v[20:21]
	s_delay_alu instid0(VALU_DEP_2) | instskip(NEXT) | instid1(VALU_DEP_2)
	v_fma_f64 v[18:19], -v[50:51], v[14:15], v[28:29]
	v_mul_f64 v[20:21], v[16:17], v[8:9]
	v_mul_f64 v[8:9], v[8:9], -v[10:11]
	s_delay_alu instid0(VALU_DEP_3) | instskip(NEXT) | instid1(VALU_DEP_3)
	v_div_fmas_f64 v[12:13], v[18:19], v[12:13], v[14:15]
	v_fma_f64 v[10:11], v[10:11], v[6:7], v[20:21]
	s_delay_alu instid0(VALU_DEP_3) | instskip(NEXT) | instid1(VALU_DEP_3)
	v_fma_f64 v[8:9], v[16:17], v[6:7], v[8:9]
	v_div_fixup_f64 v[12:13], v[12:13], v[48:49], 1.0
	s_delay_alu instid0(VALU_DEP_1) | instskip(NEXT) | instid1(VALU_DEP_3)
	v_mul_f64 v[6:7], v[10:11], v[12:13]
	v_mul_f64 v[8:9], v[12:13], v[8:9]
	global_store_b128 v[46:47], v[6:9], off
	s_cbranch_scc1 .LBB11_24
.LBB11_25:
	s_nop 0
	s_sendmsg sendmsg(MSG_DEALLOC_VGPRS)
	s_endpgm
	.section	.rodata,"a",@progbits
	.p2align	6, 0x0
	.amdhsa_kernel _ZN9rocsparseL39gpsv_interleaved_batch_givens_qr_kernelILj128E21rocsparse_complex_numIdEEEviiiPT0_S4_S4_S4_S4_S4_S4_S4_
		.amdhsa_group_segment_fixed_size 0
		.amdhsa_private_segment_fixed_size 0
		.amdhsa_kernarg_size 80
		.amdhsa_user_sgpr_count 15
		.amdhsa_user_sgpr_dispatch_ptr 0
		.amdhsa_user_sgpr_queue_ptr 0
		.amdhsa_user_sgpr_kernarg_segment_ptr 1
		.amdhsa_user_sgpr_dispatch_id 0
		.amdhsa_user_sgpr_private_segment_size 0
		.amdhsa_wavefront_size32 1
		.amdhsa_uses_dynamic_stack 0
		.amdhsa_enable_private_segment 0
		.amdhsa_system_sgpr_workgroup_id_x 1
		.amdhsa_system_sgpr_workgroup_id_y 0
		.amdhsa_system_sgpr_workgroup_id_z 0
		.amdhsa_system_sgpr_workgroup_info 0
		.amdhsa_system_vgpr_workitem_id 0
		.amdhsa_next_free_vgpr 105
		.amdhsa_next_free_sgpr 25
		.amdhsa_reserve_vcc 1
		.amdhsa_float_round_mode_32 0
		.amdhsa_float_round_mode_16_64 0
		.amdhsa_float_denorm_mode_32 3
		.amdhsa_float_denorm_mode_16_64 3
		.amdhsa_dx10_clamp 1
		.amdhsa_ieee_mode 1
		.amdhsa_fp16_overflow 0
		.amdhsa_workgroup_processor_mode 1
		.amdhsa_memory_ordered 1
		.amdhsa_forward_progress 0
		.amdhsa_shared_vgpr_count 0
		.amdhsa_exception_fp_ieee_invalid_op 0
		.amdhsa_exception_fp_denorm_src 0
		.amdhsa_exception_fp_ieee_div_zero 0
		.amdhsa_exception_fp_ieee_overflow 0
		.amdhsa_exception_fp_ieee_underflow 0
		.amdhsa_exception_fp_ieee_inexact 0
		.amdhsa_exception_int_div_zero 0
	.end_amdhsa_kernel
	.section	.text._ZN9rocsparseL39gpsv_interleaved_batch_givens_qr_kernelILj128E21rocsparse_complex_numIdEEEviiiPT0_S4_S4_S4_S4_S4_S4_S4_,"axG",@progbits,_ZN9rocsparseL39gpsv_interleaved_batch_givens_qr_kernelILj128E21rocsparse_complex_numIdEEEviiiPT0_S4_S4_S4_S4_S4_S4_S4_,comdat
.Lfunc_end11:
	.size	_ZN9rocsparseL39gpsv_interleaved_batch_givens_qr_kernelILj128E21rocsparse_complex_numIdEEEviiiPT0_S4_S4_S4_S4_S4_S4_S4_, .Lfunc_end11-_ZN9rocsparseL39gpsv_interleaved_batch_givens_qr_kernelILj128E21rocsparse_complex_numIdEEEviiiPT0_S4_S4_S4_S4_S4_S4_S4_
                                        ; -- End function
	.section	.AMDGPU.csdata,"",@progbits
; Kernel info:
; codeLenInByte = 8964
; NumSgprs: 27
; NumVgprs: 105
; ScratchSize: 0
; MemoryBound: 0
; FloatMode: 240
; IeeeMode: 1
; LDSByteSize: 0 bytes/workgroup (compile time only)
; SGPRBlocks: 3
; VGPRBlocks: 13
; NumSGPRsForWavesPerEU: 27
; NumVGPRsForWavesPerEU: 105
; Occupancy: 12
; WaveLimiterHint : 0
; COMPUTE_PGM_RSRC2:SCRATCH_EN: 0
; COMPUTE_PGM_RSRC2:USER_SGPR: 15
; COMPUTE_PGM_RSRC2:TRAP_HANDLER: 0
; COMPUTE_PGM_RSRC2:TGID_X_EN: 1
; COMPUTE_PGM_RSRC2:TGID_Y_EN: 0
; COMPUTE_PGM_RSRC2:TGID_Z_EN: 0
; COMPUTE_PGM_RSRC2:TIDIG_COMP_CNT: 0
	.text
	.p2alignl 7, 3214868480
	.fill 96, 4, 3214868480
	.type	__hip_cuid_4da6b690914975c2,@object ; @__hip_cuid_4da6b690914975c2
	.section	.bss,"aw",@nobits
	.globl	__hip_cuid_4da6b690914975c2
__hip_cuid_4da6b690914975c2:
	.byte	0                               ; 0x0
	.size	__hip_cuid_4da6b690914975c2, 1

	.ident	"AMD clang version 19.0.0git (https://github.com/RadeonOpenCompute/llvm-project roc-6.4.0 25133 c7fe45cf4b819c5991fe208aaa96edf142730f1d)"
	.section	".note.GNU-stack","",@progbits
	.addrsig
	.addrsig_sym __hip_cuid_4da6b690914975c2
	.amdgpu_metadata
---
amdhsa.kernels:
  - .args:
      - .offset:         0
        .size:           4
        .value_kind:     by_value
      - .offset:         4
        .size:           4
        .value_kind:     by_value
      - .offset:         8
        .size:           4
        .value_kind:     by_value
      - .actual_access:  read_only
        .address_space:  global
        .offset:         16
        .size:           8
        .value_kind:     global_buffer
      - .actual_access:  write_only
        .address_space:  global
        .offset:         24
        .size:           8
        .value_kind:     global_buffer
      - .offset:         32
        .size:           4
        .value_kind:     hidden_block_count_x
      - .offset:         36
        .size:           4
        .value_kind:     hidden_block_count_y
      - .offset:         40
        .size:           4
        .value_kind:     hidden_block_count_z
      - .offset:         44
        .size:           2
        .value_kind:     hidden_group_size_x
      - .offset:         46
        .size:           2
        .value_kind:     hidden_group_size_y
      - .offset:         48
        .size:           2
        .value_kind:     hidden_group_size_z
      - .offset:         50
        .size:           2
        .value_kind:     hidden_remainder_x
      - .offset:         52
        .size:           2
        .value_kind:     hidden_remainder_y
      - .offset:         54
        .size:           2
        .value_kind:     hidden_remainder_z
      - .offset:         72
        .size:           8
        .value_kind:     hidden_global_offset_x
      - .offset:         80
        .size:           8
        .value_kind:     hidden_global_offset_y
      - .offset:         88
        .size:           8
        .value_kind:     hidden_global_offset_z
      - .offset:         96
        .size:           2
        .value_kind:     hidden_grid_dims
    .group_segment_fixed_size: 0
    .kernarg_segment_align: 8
    .kernarg_segment_size: 288
    .language:       OpenCL C
    .language_version:
      - 2
      - 0
    .max_flat_workgroup_size: 256
    .name:           _ZN9rocsparseL19gpsv_strided_gatherILj256EfEEviiiPKT0_PS1_
    .private_segment_fixed_size: 0
    .sgpr_count:     18
    .sgpr_spill_count: 0
    .symbol:         _ZN9rocsparseL19gpsv_strided_gatherILj256EfEEviiiPKT0_PS1_.kd
    .uniform_work_group_size: 1
    .uses_dynamic_stack: false
    .vgpr_count:     6
    .vgpr_spill_count: 0
    .wavefront_size: 32
    .workgroup_processor_mode: 1
  - .args:
      - .offset:         0
        .size:           4
        .value_kind:     by_value
      - .offset:         4
        .size:           4
        .value_kind:     by_value
      - .offset:         8
        .size:           4
        .value_kind:     by_value
      - .address_space:  global
        .offset:         16
        .size:           8
        .value_kind:     global_buffer
      - .address_space:  global
        .offset:         24
        .size:           8
        .value_kind:     global_buffer
      - .address_space:  global
        .offset:         32
        .size:           8
        .value_kind:     global_buffer
      - .address_space:  global
        .offset:         40
        .size:           8
        .value_kind:     global_buffer
      - .address_space:  global
        .offset:         48
        .size:           8
        .value_kind:     global_buffer
      - .address_space:  global
        .offset:         56
        .size:           8
        .value_kind:     global_buffer
      - .address_space:  global
        .offset:         64
        .size:           8
        .value_kind:     global_buffer
      - .address_space:  global
        .offset:         72
        .size:           8
        .value_kind:     global_buffer
      - .address_space:  global
        .offset:         80
        .size:           8
        .value_kind:     global_buffer
      - .offset:         88
        .size:           4
        .value_kind:     hidden_block_count_x
      - .offset:         92
        .size:           4
        .value_kind:     hidden_block_count_y
      - .offset:         96
        .size:           4
        .value_kind:     hidden_block_count_z
      - .offset:         100
        .size:           2
        .value_kind:     hidden_group_size_x
      - .offset:         102
        .size:           2
        .value_kind:     hidden_group_size_y
      - .offset:         104
        .size:           2
        .value_kind:     hidden_group_size_z
      - .offset:         106
        .size:           2
        .value_kind:     hidden_remainder_x
      - .offset:         108
        .size:           2
        .value_kind:     hidden_remainder_y
      - .offset:         110
        .size:           2
        .value_kind:     hidden_remainder_z
      - .offset:         128
        .size:           8
        .value_kind:     hidden_global_offset_x
      - .offset:         136
        .size:           8
        .value_kind:     hidden_global_offset_y
      - .offset:         144
        .size:           8
        .value_kind:     hidden_global_offset_z
      - .offset:         152
        .size:           2
        .value_kind:     hidden_grid_dims
    .group_segment_fixed_size: 0
    .kernarg_segment_align: 8
    .kernarg_segment_size: 344
    .language:       OpenCL C
    .language_version:
      - 2
      - 0
    .max_flat_workgroup_size: 256
    .name:           _ZN9rocsparseL44gpsv_interleaved_batch_householder_qr_kernelILj256EfEEviiiPT0_S2_S2_S2_S2_S2_S2_S2_S2_
    .private_segment_fixed_size: 0
    .sgpr_count:     30
    .sgpr_spill_count: 0
    .symbol:         _ZN9rocsparseL44gpsv_interleaved_batch_householder_qr_kernelILj256EfEEviiiPT0_S2_S2_S2_S2_S2_S2_S2_S2_.kd
    .uniform_work_group_size: 1
    .uses_dynamic_stack: false
    .vgpr_count:     66
    .vgpr_spill_count: 0
    .wavefront_size: 32
    .workgroup_processor_mode: 1
  - .args:
      - .offset:         0
        .size:           4
        .value_kind:     by_value
      - .offset:         4
        .size:           4
        .value_kind:     by_value
      - .offset:         8
        .size:           4
        .value_kind:     by_value
      - .actual_access:  read_only
        .address_space:  global
        .offset:         16
        .size:           8
        .value_kind:     global_buffer
      - .address_space:  global
        .offset:         24
        .size:           8
        .value_kind:     global_buffer
      - .address_space:  global
        .offset:         32
        .size:           8
        .value_kind:     global_buffer
      - .address_space:  global
        .offset:         40
        .size:           8
        .value_kind:     global_buffer
      - .address_space:  global
        .offset:         48
        .size:           8
        .value_kind:     global_buffer
      - .address_space:  global
        .offset:         56
        .size:           8
        .value_kind:     global_buffer
      - .address_space:  global
        .offset:         64
        .size:           8
        .value_kind:     global_buffer
      - .address_space:  global
        .offset:         72
        .size:           8
        .value_kind:     global_buffer
    .group_segment_fixed_size: 0
    .kernarg_segment_align: 8
    .kernarg_segment_size: 80
    .language:       OpenCL C
    .language_version:
      - 2
      - 0
    .max_flat_workgroup_size: 128
    .name:           _ZN9rocsparseL39gpsv_interleaved_batch_givens_qr_kernelILj128EfEEviiiPT0_S2_S2_S2_S2_S2_S2_S2_
    .private_segment_fixed_size: 0
    .sgpr_count:     26
    .sgpr_spill_count: 0
    .symbol:         _ZN9rocsparseL39gpsv_interleaved_batch_givens_qr_kernelILj128EfEEviiiPT0_S2_S2_S2_S2_S2_S2_S2_.kd
    .uniform_work_group_size: 1
    .uses_dynamic_stack: false
    .vgpr_count:     54
    .vgpr_spill_count: 0
    .wavefront_size: 32
    .workgroup_processor_mode: 1
  - .args:
      - .offset:         0
        .size:           4
        .value_kind:     by_value
      - .offset:         4
        .size:           4
        .value_kind:     by_value
      - .offset:         8
        .size:           4
        .value_kind:     by_value
      - .actual_access:  read_only
        .address_space:  global
        .offset:         16
        .size:           8
        .value_kind:     global_buffer
      - .actual_access:  write_only
        .address_space:  global
        .offset:         24
        .size:           8
        .value_kind:     global_buffer
      - .offset:         32
        .size:           4
        .value_kind:     hidden_block_count_x
      - .offset:         36
        .size:           4
        .value_kind:     hidden_block_count_y
      - .offset:         40
        .size:           4
        .value_kind:     hidden_block_count_z
      - .offset:         44
        .size:           2
        .value_kind:     hidden_group_size_x
      - .offset:         46
        .size:           2
        .value_kind:     hidden_group_size_y
      - .offset:         48
        .size:           2
        .value_kind:     hidden_group_size_z
      - .offset:         50
        .size:           2
        .value_kind:     hidden_remainder_x
      - .offset:         52
        .size:           2
        .value_kind:     hidden_remainder_y
      - .offset:         54
        .size:           2
        .value_kind:     hidden_remainder_z
      - .offset:         72
        .size:           8
        .value_kind:     hidden_global_offset_x
      - .offset:         80
        .size:           8
        .value_kind:     hidden_global_offset_y
      - .offset:         88
        .size:           8
        .value_kind:     hidden_global_offset_z
      - .offset:         96
        .size:           2
        .value_kind:     hidden_grid_dims
    .group_segment_fixed_size: 0
    .kernarg_segment_align: 8
    .kernarg_segment_size: 288
    .language:       OpenCL C
    .language_version:
      - 2
      - 0
    .max_flat_workgroup_size: 256
    .name:           _ZN9rocsparseL19gpsv_strided_gatherILj256EdEEviiiPKT0_PS1_
    .private_segment_fixed_size: 0
    .sgpr_count:     18
    .sgpr_spill_count: 0
    .symbol:         _ZN9rocsparseL19gpsv_strided_gatherILj256EdEEviiiPKT0_PS1_.kd
    .uniform_work_group_size: 1
    .uses_dynamic_stack: false
    .vgpr_count:     9
    .vgpr_spill_count: 0
    .wavefront_size: 32
    .workgroup_processor_mode: 1
  - .args:
      - .offset:         0
        .size:           4
        .value_kind:     by_value
      - .offset:         4
        .size:           4
        .value_kind:     by_value
      - .offset:         8
        .size:           4
        .value_kind:     by_value
      - .address_space:  global
        .offset:         16
        .size:           8
        .value_kind:     global_buffer
      - .address_space:  global
        .offset:         24
        .size:           8
        .value_kind:     global_buffer
      - .address_space:  global
        .offset:         32
        .size:           8
        .value_kind:     global_buffer
      - .address_space:  global
        .offset:         40
        .size:           8
        .value_kind:     global_buffer
      - .address_space:  global
        .offset:         48
        .size:           8
        .value_kind:     global_buffer
      - .address_space:  global
        .offset:         56
        .size:           8
        .value_kind:     global_buffer
      - .address_space:  global
        .offset:         64
        .size:           8
        .value_kind:     global_buffer
      - .address_space:  global
        .offset:         72
        .size:           8
        .value_kind:     global_buffer
      - .address_space:  global
        .offset:         80
        .size:           8
        .value_kind:     global_buffer
      - .offset:         88
        .size:           4
        .value_kind:     hidden_block_count_x
      - .offset:         92
        .size:           4
        .value_kind:     hidden_block_count_y
      - .offset:         96
        .size:           4
        .value_kind:     hidden_block_count_z
      - .offset:         100
        .size:           2
        .value_kind:     hidden_group_size_x
      - .offset:         102
        .size:           2
        .value_kind:     hidden_group_size_y
      - .offset:         104
        .size:           2
        .value_kind:     hidden_group_size_z
      - .offset:         106
        .size:           2
        .value_kind:     hidden_remainder_x
      - .offset:         108
        .size:           2
        .value_kind:     hidden_remainder_y
      - .offset:         110
        .size:           2
        .value_kind:     hidden_remainder_z
      - .offset:         128
        .size:           8
        .value_kind:     hidden_global_offset_x
      - .offset:         136
        .size:           8
        .value_kind:     hidden_global_offset_y
      - .offset:         144
        .size:           8
        .value_kind:     hidden_global_offset_z
      - .offset:         152
        .size:           2
        .value_kind:     hidden_grid_dims
    .group_segment_fixed_size: 0
    .kernarg_segment_align: 8
    .kernarg_segment_size: 344
    .language:       OpenCL C
    .language_version:
      - 2
      - 0
    .max_flat_workgroup_size: 256
    .name:           _ZN9rocsparseL44gpsv_interleaved_batch_householder_qr_kernelILj256EdEEviiiPT0_S2_S2_S2_S2_S2_S2_S2_S2_
    .private_segment_fixed_size: 0
    .sgpr_count:     30
    .sgpr_spill_count: 0
    .symbol:         _ZN9rocsparseL44gpsv_interleaved_batch_householder_qr_kernelILj256EdEEviiiPT0_S2_S2_S2_S2_S2_S2_S2_S2_.kd
    .uniform_work_group_size: 1
    .uses_dynamic_stack: false
    .vgpr_count:     93
    .vgpr_spill_count: 0
    .wavefront_size: 32
    .workgroup_processor_mode: 1
  - .args:
      - .offset:         0
        .size:           4
        .value_kind:     by_value
      - .offset:         4
        .size:           4
        .value_kind:     by_value
      - .offset:         8
        .size:           4
        .value_kind:     by_value
      - .actual_access:  read_only
        .address_space:  global
        .offset:         16
        .size:           8
        .value_kind:     global_buffer
      - .address_space:  global
        .offset:         24
        .size:           8
        .value_kind:     global_buffer
      - .address_space:  global
        .offset:         32
        .size:           8
        .value_kind:     global_buffer
      - .address_space:  global
        .offset:         40
        .size:           8
        .value_kind:     global_buffer
      - .address_space:  global
        .offset:         48
        .size:           8
        .value_kind:     global_buffer
      - .address_space:  global
        .offset:         56
        .size:           8
        .value_kind:     global_buffer
      - .address_space:  global
        .offset:         64
        .size:           8
        .value_kind:     global_buffer
      - .address_space:  global
        .offset:         72
        .size:           8
        .value_kind:     global_buffer
    .group_segment_fixed_size: 0
    .kernarg_segment_align: 8
    .kernarg_segment_size: 80
    .language:       OpenCL C
    .language_version:
      - 2
      - 0
    .max_flat_workgroup_size: 128
    .name:           _ZN9rocsparseL39gpsv_interleaved_batch_givens_qr_kernelILj128EdEEviiiPT0_S2_S2_S2_S2_S2_S2_S2_
    .private_segment_fixed_size: 0
    .sgpr_count:     26
    .sgpr_spill_count: 0
    .symbol:         _ZN9rocsparseL39gpsv_interleaved_batch_givens_qr_kernelILj128EdEEviiiPT0_S2_S2_S2_S2_S2_S2_S2_.kd
    .uniform_work_group_size: 1
    .uses_dynamic_stack: false
    .vgpr_count:     80
    .vgpr_spill_count: 0
    .wavefront_size: 32
    .workgroup_processor_mode: 1
  - .args:
      - .offset:         0
        .size:           4
        .value_kind:     by_value
      - .offset:         4
        .size:           4
        .value_kind:     by_value
      - .offset:         8
        .size:           4
        .value_kind:     by_value
      - .actual_access:  read_only
        .address_space:  global
        .offset:         16
        .size:           8
        .value_kind:     global_buffer
      - .actual_access:  write_only
        .address_space:  global
        .offset:         24
        .size:           8
        .value_kind:     global_buffer
      - .offset:         32
        .size:           4
        .value_kind:     hidden_block_count_x
      - .offset:         36
        .size:           4
        .value_kind:     hidden_block_count_y
      - .offset:         40
        .size:           4
        .value_kind:     hidden_block_count_z
      - .offset:         44
        .size:           2
        .value_kind:     hidden_group_size_x
      - .offset:         46
        .size:           2
        .value_kind:     hidden_group_size_y
      - .offset:         48
        .size:           2
        .value_kind:     hidden_group_size_z
      - .offset:         50
        .size:           2
        .value_kind:     hidden_remainder_x
      - .offset:         52
        .size:           2
        .value_kind:     hidden_remainder_y
      - .offset:         54
        .size:           2
        .value_kind:     hidden_remainder_z
      - .offset:         72
        .size:           8
        .value_kind:     hidden_global_offset_x
      - .offset:         80
        .size:           8
        .value_kind:     hidden_global_offset_y
      - .offset:         88
        .size:           8
        .value_kind:     hidden_global_offset_z
      - .offset:         96
        .size:           2
        .value_kind:     hidden_grid_dims
    .group_segment_fixed_size: 0
    .kernarg_segment_align: 8
    .kernarg_segment_size: 288
    .language:       OpenCL C
    .language_version:
      - 2
      - 0
    .max_flat_workgroup_size: 256
    .name:           _ZN9rocsparseL19gpsv_strided_gatherILj256E21rocsparse_complex_numIfEEEviiiPKT0_PS3_
    .private_segment_fixed_size: 0
    .sgpr_count:     18
    .sgpr_spill_count: 0
    .symbol:         _ZN9rocsparseL19gpsv_strided_gatherILj256E21rocsparse_complex_numIfEEEviiiPKT0_PS3_.kd
    .uniform_work_group_size: 1
    .uses_dynamic_stack: false
    .vgpr_count:     9
    .vgpr_spill_count: 0
    .wavefront_size: 32
    .workgroup_processor_mode: 1
  - .args:
      - .offset:         0
        .size:           4
        .value_kind:     by_value
      - .offset:         4
        .size:           4
        .value_kind:     by_value
      - .offset:         8
        .size:           4
        .value_kind:     by_value
      - .address_space:  global
        .offset:         16
        .size:           8
        .value_kind:     global_buffer
      - .address_space:  global
        .offset:         24
        .size:           8
        .value_kind:     global_buffer
      - .address_space:  global
        .offset:         32
        .size:           8
        .value_kind:     global_buffer
      - .address_space:  global
        .offset:         40
        .size:           8
        .value_kind:     global_buffer
      - .address_space:  global
        .offset:         48
        .size:           8
        .value_kind:     global_buffer
      - .address_space:  global
        .offset:         56
        .size:           8
        .value_kind:     global_buffer
      - .address_space:  global
        .offset:         64
        .size:           8
        .value_kind:     global_buffer
      - .address_space:  global
        .offset:         72
        .size:           8
        .value_kind:     global_buffer
      - .address_space:  global
        .offset:         80
        .size:           8
        .value_kind:     global_buffer
      - .offset:         88
        .size:           4
        .value_kind:     hidden_block_count_x
      - .offset:         92
        .size:           4
        .value_kind:     hidden_block_count_y
      - .offset:         96
        .size:           4
        .value_kind:     hidden_block_count_z
      - .offset:         100
        .size:           2
        .value_kind:     hidden_group_size_x
      - .offset:         102
        .size:           2
        .value_kind:     hidden_group_size_y
      - .offset:         104
        .size:           2
        .value_kind:     hidden_group_size_z
      - .offset:         106
        .size:           2
        .value_kind:     hidden_remainder_x
      - .offset:         108
        .size:           2
        .value_kind:     hidden_remainder_y
      - .offset:         110
        .size:           2
        .value_kind:     hidden_remainder_z
      - .offset:         128
        .size:           8
        .value_kind:     hidden_global_offset_x
      - .offset:         136
        .size:           8
        .value_kind:     hidden_global_offset_y
      - .offset:         144
        .size:           8
        .value_kind:     hidden_global_offset_z
      - .offset:         152
        .size:           2
        .value_kind:     hidden_grid_dims
    .group_segment_fixed_size: 0
    .kernarg_segment_align: 8
    .kernarg_segment_size: 344
    .language:       OpenCL C
    .language_version:
      - 2
      - 0
    .max_flat_workgroup_size: 256
    .name:           _ZN9rocsparseL44gpsv_interleaved_batch_householder_qr_kernelILj256E21rocsparse_complex_numIfEEEviiiPT0_S4_S4_S4_S4_S4_S4_S4_S4_
    .private_segment_fixed_size: 0
    .sgpr_count:     32
    .sgpr_spill_count: 0
    .symbol:         _ZN9rocsparseL44gpsv_interleaved_batch_householder_qr_kernelILj256E21rocsparse_complex_numIfEEEviiiPT0_S4_S4_S4_S4_S4_S4_S4_S4_.kd
    .uniform_work_group_size: 1
    .uses_dynamic_stack: false
    .vgpr_count:     91
    .vgpr_spill_count: 0
    .wavefront_size: 32
    .workgroup_processor_mode: 1
  - .args:
      - .offset:         0
        .size:           4
        .value_kind:     by_value
      - .offset:         4
        .size:           4
        .value_kind:     by_value
      - .offset:         8
        .size:           4
        .value_kind:     by_value
      - .actual_access:  read_only
        .address_space:  global
        .offset:         16
        .size:           8
        .value_kind:     global_buffer
      - .address_space:  global
        .offset:         24
        .size:           8
        .value_kind:     global_buffer
      - .address_space:  global
        .offset:         32
        .size:           8
        .value_kind:     global_buffer
      - .address_space:  global
        .offset:         40
        .size:           8
        .value_kind:     global_buffer
      - .address_space:  global
        .offset:         48
        .size:           8
        .value_kind:     global_buffer
      - .address_space:  global
        .offset:         56
        .size:           8
        .value_kind:     global_buffer
      - .address_space:  global
        .offset:         64
        .size:           8
        .value_kind:     global_buffer
      - .address_space:  global
        .offset:         72
        .size:           8
        .value_kind:     global_buffer
    .group_segment_fixed_size: 0
    .kernarg_segment_align: 8
    .kernarg_segment_size: 80
    .language:       OpenCL C
    .language_version:
      - 2
      - 0
    .max_flat_workgroup_size: 128
    .name:           _ZN9rocsparseL39gpsv_interleaved_batch_givens_qr_kernelILj128E21rocsparse_complex_numIfEEEviiiPT0_S4_S4_S4_S4_S4_S4_S4_
    .private_segment_fixed_size: 0
    .sgpr_count:     28
    .sgpr_spill_count: 0
    .symbol:         _ZN9rocsparseL39gpsv_interleaved_batch_givens_qr_kernelILj128E21rocsparse_complex_numIfEEEviiiPT0_S4_S4_S4_S4_S4_S4_S4_.kd
    .uniform_work_group_size: 1
    .uses_dynamic_stack: false
    .vgpr_count:     78
    .vgpr_spill_count: 0
    .wavefront_size: 32
    .workgroup_processor_mode: 1
  - .args:
      - .offset:         0
        .size:           4
        .value_kind:     by_value
      - .offset:         4
        .size:           4
        .value_kind:     by_value
      - .offset:         8
        .size:           4
        .value_kind:     by_value
      - .actual_access:  read_only
        .address_space:  global
        .offset:         16
        .size:           8
        .value_kind:     global_buffer
      - .actual_access:  write_only
        .address_space:  global
        .offset:         24
        .size:           8
        .value_kind:     global_buffer
      - .offset:         32
        .size:           4
        .value_kind:     hidden_block_count_x
      - .offset:         36
        .size:           4
        .value_kind:     hidden_block_count_y
      - .offset:         40
        .size:           4
        .value_kind:     hidden_block_count_z
      - .offset:         44
        .size:           2
        .value_kind:     hidden_group_size_x
      - .offset:         46
        .size:           2
        .value_kind:     hidden_group_size_y
      - .offset:         48
        .size:           2
        .value_kind:     hidden_group_size_z
      - .offset:         50
        .size:           2
        .value_kind:     hidden_remainder_x
      - .offset:         52
        .size:           2
        .value_kind:     hidden_remainder_y
      - .offset:         54
        .size:           2
        .value_kind:     hidden_remainder_z
      - .offset:         72
        .size:           8
        .value_kind:     hidden_global_offset_x
      - .offset:         80
        .size:           8
        .value_kind:     hidden_global_offset_y
      - .offset:         88
        .size:           8
        .value_kind:     hidden_global_offset_z
      - .offset:         96
        .size:           2
        .value_kind:     hidden_grid_dims
    .group_segment_fixed_size: 0
    .kernarg_segment_align: 8
    .kernarg_segment_size: 288
    .language:       OpenCL C
    .language_version:
      - 2
      - 0
    .max_flat_workgroup_size: 256
    .name:           _ZN9rocsparseL19gpsv_strided_gatherILj256E21rocsparse_complex_numIdEEEviiiPKT0_PS3_
    .private_segment_fixed_size: 0
    .sgpr_count:     18
    .sgpr_spill_count: 0
    .symbol:         _ZN9rocsparseL19gpsv_strided_gatherILj256E21rocsparse_complex_numIdEEEviiiPKT0_PS3_.kd
    .uniform_work_group_size: 1
    .uses_dynamic_stack: false
    .vgpr_count:     11
    .vgpr_spill_count: 0
    .wavefront_size: 32
    .workgroup_processor_mode: 1
  - .args:
      - .offset:         0
        .size:           4
        .value_kind:     by_value
      - .offset:         4
        .size:           4
        .value_kind:     by_value
      - .offset:         8
        .size:           4
        .value_kind:     by_value
      - .address_space:  global
        .offset:         16
        .size:           8
        .value_kind:     global_buffer
      - .address_space:  global
        .offset:         24
        .size:           8
        .value_kind:     global_buffer
      - .address_space:  global
        .offset:         32
        .size:           8
        .value_kind:     global_buffer
      - .address_space:  global
        .offset:         40
        .size:           8
        .value_kind:     global_buffer
      - .address_space:  global
        .offset:         48
        .size:           8
        .value_kind:     global_buffer
      - .address_space:  global
        .offset:         56
        .size:           8
        .value_kind:     global_buffer
      - .address_space:  global
        .offset:         64
        .size:           8
        .value_kind:     global_buffer
      - .address_space:  global
        .offset:         72
        .size:           8
        .value_kind:     global_buffer
      - .address_space:  global
        .offset:         80
        .size:           8
        .value_kind:     global_buffer
      - .offset:         88
        .size:           4
        .value_kind:     hidden_block_count_x
      - .offset:         92
        .size:           4
        .value_kind:     hidden_block_count_y
      - .offset:         96
        .size:           4
        .value_kind:     hidden_block_count_z
      - .offset:         100
        .size:           2
        .value_kind:     hidden_group_size_x
      - .offset:         102
        .size:           2
        .value_kind:     hidden_group_size_y
      - .offset:         104
        .size:           2
        .value_kind:     hidden_group_size_z
      - .offset:         106
        .size:           2
        .value_kind:     hidden_remainder_x
      - .offset:         108
        .size:           2
        .value_kind:     hidden_remainder_y
      - .offset:         110
        .size:           2
        .value_kind:     hidden_remainder_z
      - .offset:         128
        .size:           8
        .value_kind:     hidden_global_offset_x
      - .offset:         136
        .size:           8
        .value_kind:     hidden_global_offset_y
      - .offset:         144
        .size:           8
        .value_kind:     hidden_global_offset_z
      - .offset:         152
        .size:           2
        .value_kind:     hidden_grid_dims
    .group_segment_fixed_size: 0
    .kernarg_segment_align: 8
    .kernarg_segment_size: 344
    .language:       OpenCL C
    .language_version:
      - 2
      - 0
    .max_flat_workgroup_size: 256
    .name:           _ZN9rocsparseL44gpsv_interleaved_batch_householder_qr_kernelILj256E21rocsparse_complex_numIdEEEviiiPT0_S4_S4_S4_S4_S4_S4_S4_S4_
    .private_segment_fixed_size: 0
    .sgpr_count:     31
    .sgpr_spill_count: 0
    .symbol:         _ZN9rocsparseL44gpsv_interleaved_batch_householder_qr_kernelILj256E21rocsparse_complex_numIdEEEviiiPT0_S4_S4_S4_S4_S4_S4_S4_S4_.kd
    .uniform_work_group_size: 1
    .uses_dynamic_stack: false
    .vgpr_count:     133
    .vgpr_spill_count: 0
    .wavefront_size: 32
    .workgroup_processor_mode: 1
  - .args:
      - .offset:         0
        .size:           4
        .value_kind:     by_value
      - .offset:         4
        .size:           4
        .value_kind:     by_value
      - .offset:         8
        .size:           4
        .value_kind:     by_value
      - .actual_access:  read_only
        .address_space:  global
        .offset:         16
        .size:           8
        .value_kind:     global_buffer
      - .address_space:  global
        .offset:         24
        .size:           8
        .value_kind:     global_buffer
      - .address_space:  global
        .offset:         32
        .size:           8
        .value_kind:     global_buffer
      - .address_space:  global
        .offset:         40
        .size:           8
        .value_kind:     global_buffer
      - .address_space:  global
        .offset:         48
        .size:           8
        .value_kind:     global_buffer
      - .address_space:  global
        .offset:         56
        .size:           8
        .value_kind:     global_buffer
      - .address_space:  global
        .offset:         64
        .size:           8
        .value_kind:     global_buffer
      - .address_space:  global
        .offset:         72
        .size:           8
        .value_kind:     global_buffer
    .group_segment_fixed_size: 0
    .kernarg_segment_align: 8
    .kernarg_segment_size: 80
    .language:       OpenCL C
    .language_version:
      - 2
      - 0
    .max_flat_workgroup_size: 128
    .name:           _ZN9rocsparseL39gpsv_interleaved_batch_givens_qr_kernelILj128E21rocsparse_complex_numIdEEEviiiPT0_S4_S4_S4_S4_S4_S4_S4_
    .private_segment_fixed_size: 0
    .sgpr_count:     27
    .sgpr_spill_count: 0
    .symbol:         _ZN9rocsparseL39gpsv_interleaved_batch_givens_qr_kernelILj128E21rocsparse_complex_numIdEEEviiiPT0_S4_S4_S4_S4_S4_S4_S4_.kd
    .uniform_work_group_size: 1
    .uses_dynamic_stack: false
    .vgpr_count:     105
    .vgpr_spill_count: 0
    .wavefront_size: 32
    .workgroup_processor_mode: 1
amdhsa.target:   amdgcn-amd-amdhsa--gfx1100
amdhsa.version:
  - 1
  - 2
...

	.end_amdgpu_metadata
